;; amdgpu-corpus repo=ROCm/rocFFT kind=compiled arch=gfx950 opt=O3
	.text
	.amdgcn_target "amdgcn-amd-amdhsa--gfx950"
	.amdhsa_code_object_version 6
	.protected	fft_rtc_fwd_len169_factors_13_13_wgs_156_tpt_13_dp_op_CI_CI_sbcc_twdbase8_2step_dirReg_intrinsicRead ; -- Begin function fft_rtc_fwd_len169_factors_13_13_wgs_156_tpt_13_dp_op_CI_CI_sbcc_twdbase8_2step_dirReg_intrinsicRead
	.globl	fft_rtc_fwd_len169_factors_13_13_wgs_156_tpt_13_dp_op_CI_CI_sbcc_twdbase8_2step_dirReg_intrinsicRead
	.p2align	8
	.type	fft_rtc_fwd_len169_factors_13_13_wgs_156_tpt_13_dp_op_CI_CI_sbcc_twdbase8_2step_dirReg_intrinsicRead,@function
fft_rtc_fwd_len169_factors_13_13_wgs_156_tpt_13_dp_op_CI_CI_sbcc_twdbase8_2step_dirReg_intrinsicRead: ; @fft_rtc_fwd_len169_factors_13_13_wgs_156_tpt_13_dp_op_CI_CI_sbcc_twdbase8_2step_dirReg_intrinsicRead
; %bb.0:
	s_load_dwordx4 s[20:23], s[0:1], 0x18
	s_load_dwordx2 s[30:31], s[0:1], 0x28
	v_mov_b32_e32 v148, v0
	s_mov_b32 s3, 0
	s_mov_b64 s[26:27], 0
	s_waitcnt lgkmcnt(0)
	s_load_dwordx2 s[28:29], s[20:21], 0x8
	s_waitcnt lgkmcnt(0)
	s_add_u32 s4, s28, -1
	s_addc_u32 s5, s29, -1
	s_add_u32 s6, 0, 0x55540000
	s_addc_u32 s7, 0, 0x55
	s_mul_hi_u32 s9, s6, -12
	s_add_i32 s7, s7, 0x15555500
	s_sub_i32 s9, s9, s6
	s_mul_i32 s12, s7, -12
	s_mul_i32 s8, s6, -12
	s_add_i32 s9, s9, s12
	s_mul_hi_u32 s10, s7, s8
	s_mul_i32 s11, s7, s8
	s_mul_i32 s13, s6, s9
	s_mul_hi_u32 s8, s6, s8
	s_mul_hi_u32 s12, s6, s9
	s_add_u32 s8, s8, s13
	s_addc_u32 s12, 0, s12
	s_add_u32 s8, s8, s11
	s_mul_hi_u32 s13, s7, s9
	s_addc_u32 s8, s12, s10
	s_addc_u32 s10, s13, 0
	s_mul_i32 s9, s7, s9
	s_add_u32 s8, s8, s9
	v_mov_b32_e32 v0, s8
	s_addc_u32 s9, 0, s10
	v_add_co_u32_e32 v0, vcc, s6, v0
	s_cmp_lg_u64 vcc, 0
	s_addc_u32 s6, s7, s9
	v_readfirstlane_b32 s9, v0
	s_mul_i32 s8, s4, s6
	s_mul_hi_u32 s10, s4, s9
	s_mul_hi_u32 s7, s4, s6
	s_add_u32 s8, s10, s8
	s_addc_u32 s7, 0, s7
	s_mul_hi_u32 s11, s5, s9
	s_mul_i32 s9, s5, s9
	s_add_u32 s8, s8, s9
	s_mul_hi_u32 s10, s5, s6
	s_addc_u32 s7, s7, s11
	s_addc_u32 s8, s10, 0
	s_mul_i32 s6, s5, s6
	s_add_u32 s6, s7, s6
	s_addc_u32 s7, 0, s8
	s_add_u32 s8, s6, 1
	s_addc_u32 s9, s7, 0
	s_add_u32 s10, s6, 2
	s_mul_i32 s12, s7, 12
	s_mul_hi_u32 s13, s6, 12
	s_addc_u32 s11, s7, 0
	s_add_i32 s13, s13, s12
	s_mul_i32 s12, s6, 12
	v_mov_b32_e32 v0, s12
	v_sub_co_u32_e32 v0, vcc, s4, v0
	s_cmp_lg_u64 vcc, 0
	s_subb_u32 s4, s5, s13
	v_subrev_co_u32_e32 v1, vcc, 12, v0
	s_cmp_lg_u64 vcc, 0
	s_subb_u32 s5, s4, 0
	v_readfirstlane_b32 s12, v1
	s_cmp_gt_u32 s12, 11
	s_cselect_b32 s12, -1, 0
	s_cmp_eq_u32 s5, 0
	s_cselect_b32 s5, s12, -1
	s_cmp_lg_u32 s5, 0
	s_cselect_b32 s5, s10, s8
	s_cselect_b32 s8, s11, s9
	v_readfirstlane_b32 s9, v0
	s_cmp_gt_u32 s9, 11
	s_cselect_b32 s9, -1, 0
	s_cmp_eq_u32 s4, 0
	s_cselect_b32 s4, s9, -1
	s_cmp_lg_u32 s4, 0
	s_cselect_b32 s5, s5, s6
	s_cselect_b32 s4, s8, s7
	s_add_u32 s34, s5, 1
	s_addc_u32 s35, s4, 0
	v_mov_b64_e32 v[2:3], s[34:35]
	v_cmp_lt_u64_e32 vcc, s[2:3], v[2:3]
	s_cbranch_vccnz .LBB0_2
; %bb.1:
	v_cvt_f32_u32_e32 v0, s34
	s_sub_i32 s4, 0, s34
	s_mov_b32 s27, s3
	v_rcp_iflag_f32_e32 v0, v0
	s_nop 0
	v_mul_f32_e32 v0, 0x4f7ffffe, v0
	v_cvt_u32_f32_e32 v0, v0
	s_nop 0
	v_readfirstlane_b32 s5, v0
	s_mul_i32 s4, s4, s5
	s_mul_hi_u32 s4, s5, s4
	s_add_i32 s5, s5, s4
	s_mul_hi_u32 s4, s2, s5
	s_mul_i32 s6, s4, s34
	s_sub_i32 s6, s2, s6
	s_add_i32 s5, s4, 1
	s_sub_i32 s7, s6, s34
	s_cmp_ge_u32 s6, s34
	s_cselect_b32 s4, s5, s4
	s_cselect_b32 s6, s7, s6
	s_add_i32 s5, s4, 1
	s_cmp_ge_u32 s6, s34
	s_cselect_b32 s26, s5, s4
.LBB0_2:
	s_load_dwordx4 s[8:11], s[0:1], 0x60
	s_load_dwordx4 s[16:19], s[22:23], 0x0
	;; [unrolled: 1-line block ×3, first 2 shown]
	s_load_dwordx2 s[50:51], s[0:1], 0x0
	s_load_dwordx4 s[12:15], s[0:1], 0x8
	s_mul_i32 s0, s26, s35
	s_mul_hi_u32 s1, s26, s34
	s_add_i32 s1, s1, s0
	s_mul_i32 s0, s26, s34
	s_sub_u32 s0, s2, s0
	s_subb_u32 s1, 0, s1
	s_mul_i32 s1, s1, 12
	s_waitcnt lgkmcnt(0)
	s_mul_hi_u32 s17, s0, 12
	s_add_i32 s37, s17, s1
	s_mul_i32 s36, s0, 12
	s_mul_i32 s0, s18, s37
	s_mul_hi_u32 s1, s18, s36
	s_add_i32 s0, s1, s0
	s_mul_i32 s1, s19, s36
	s_add_i32 s19, s0, s1
	s_mul_i32 s0, s6, s37
	s_mul_hi_u32 s1, s6, s36
	s_add_i32 s0, s1, s0
	s_mul_i32 s1, s7, s36
	s_add_i32 s25, s0, s1
	v_cmp_lt_u64_e64 s[0:1], s[14:15], 3
	s_mul_i32 s17, s18, s36
	s_mul_i32 s24, s6, s36
	s_and_b64 vcc, exec, s[0:1]
	s_cbranch_vccnz .LBB0_12
; %bb.3:
	s_add_u32 s38, s30, 16
	s_addc_u32 s39, s31, 0
	s_add_u32 s40, s22, 16
	s_addc_u32 s41, s23, 0
	s_add_u32 s20, s20, 16
	s_addc_u32 s21, s21, 0
	s_mov_b64 s[42:43], 2
	s_mov_b32 s44, 0
	v_mov_b64_e32 v[2:3], s[14:15]
.LBB0_4:                                ; =>This Inner Loop Header: Depth=1
	s_load_dwordx2 s[46:47], s[20:21], 0x0
	s_waitcnt lgkmcnt(0)
	s_or_b64 s[0:1], s[26:27], s[46:47]
	s_mov_b32 s45, s1
	s_cmp_lg_u64 s[44:45], 0
	s_cbranch_scc0 .LBB0_9
; %bb.5:                                ;   in Loop: Header=BB0_4 Depth=1
	v_cvt_f32_u32_e32 v0, s46
	v_cvt_f32_u32_e32 v1, s47
	s_sub_u32 s0, 0, s46
	s_subb_u32 s1, 0, s47
	v_fmac_f32_e32 v0, 0x4f800000, v1
	v_rcp_f32_e32 v0, v0
	s_nop 0
	v_mul_f32_e32 v0, 0x5f7ffffc, v0
	v_mul_f32_e32 v1, 0x2f800000, v0
	v_trunc_f32_e32 v1, v1
	v_fmac_f32_e32 v0, 0xcf800000, v1
	v_cvt_u32_f32_e32 v1, v1
	v_cvt_u32_f32_e32 v0, v0
	v_readfirstlane_b32 s33, v1
	v_readfirstlane_b32 s45, v0
	s_mul_i32 s48, s0, s33
	s_mul_hi_u32 s52, s0, s45
	s_mul_i32 s49, s1, s45
	s_add_i32 s48, s52, s48
	s_mul_i32 s53, s0, s45
	s_add_i32 s48, s48, s49
	s_mul_hi_u32 s49, s45, s48
	s_mul_i32 s52, s45, s48
	s_mul_hi_u32 s45, s45, s53
	s_add_u32 s45, s45, s52
	s_addc_u32 s49, 0, s49
	s_mul_hi_u32 s54, s33, s53
	s_mul_i32 s53, s33, s53
	s_add_u32 s45, s45, s53
	s_mul_hi_u32 s52, s33, s48
	s_addc_u32 s45, s49, s54
	s_addc_u32 s49, s52, 0
	s_mul_i32 s48, s33, s48
	s_add_u32 s45, s45, s48
	s_addc_u32 s48, 0, s49
	v_add_co_u32_e32 v0, vcc, s45, v0
	s_cmp_lg_u64 vcc, 0
	s_addc_u32 s33, s33, s48
	v_readfirstlane_b32 s48, v0
	s_mul_i32 s45, s0, s33
	s_mul_hi_u32 s49, s0, s48
	s_add_i32 s45, s49, s45
	s_mul_i32 s1, s1, s48
	s_add_i32 s45, s45, s1
	s_mul_i32 s0, s0, s48
	s_mul_hi_u32 s49, s33, s0
	s_mul_i32 s52, s33, s0
	s_mul_i32 s54, s48, s45
	s_mul_hi_u32 s0, s48, s0
	s_mul_hi_u32 s53, s48, s45
	s_add_u32 s0, s0, s54
	s_addc_u32 s48, 0, s53
	s_add_u32 s0, s0, s52
	s_mul_hi_u32 s1, s33, s45
	s_addc_u32 s0, s48, s49
	s_addc_u32 s1, s1, 0
	s_mul_i32 s45, s33, s45
	s_add_u32 s0, s0, s45
	s_addc_u32 s1, 0, s1
	v_add_co_u32_e32 v0, vcc, s0, v0
	s_cmp_lg_u64 vcc, 0
	s_addc_u32 s0, s33, s1
	v_readfirstlane_b32 s45, v0
	s_mul_i32 s33, s26, s0
	s_mul_hi_u32 s48, s26, s45
	s_mul_hi_u32 s1, s26, s0
	s_add_u32 s33, s48, s33
	s_addc_u32 s1, 0, s1
	s_mul_hi_u32 s49, s27, s45
	s_mul_i32 s45, s27, s45
	s_add_u32 s33, s33, s45
	s_mul_hi_u32 s48, s27, s0
	s_addc_u32 s1, s1, s49
	s_addc_u32 s33, s48, 0
	s_mul_i32 s0, s27, s0
	s_add_u32 s45, s1, s0
	s_addc_u32 s33, 0, s33
	s_mul_i32 s0, s46, s33
	s_mul_hi_u32 s1, s46, s45
	s_add_i32 s0, s1, s0
	s_mul_i32 s1, s47, s45
	s_add_i32 s48, s0, s1
	s_mul_i32 s1, s46, s45
	v_mov_b32_e32 v0, s1
	s_sub_i32 s0, s27, s48
	v_sub_co_u32_e32 v0, vcc, s26, v0
	s_cmp_lg_u64 vcc, 0
	s_subb_u32 s49, s0, s47
	v_subrev_co_u32_e64 v1, s[0:1], s46, v0
	s_cmp_lg_u64 s[0:1], 0
	s_subb_u32 s0, s49, 0
	s_cmp_ge_u32 s0, s47
	v_readfirstlane_b32 s49, v1
	s_cselect_b32 s1, -1, 0
	s_cmp_ge_u32 s49, s46
	s_cselect_b32 s49, -1, 0
	s_cmp_eq_u32 s0, s47
	s_cselect_b32 s0, s49, s1
	s_add_u32 s1, s45, 1
	s_addc_u32 s49, s33, 0
	s_add_u32 s52, s45, 2
	s_addc_u32 s53, s33, 0
	s_cmp_lg_u32 s0, 0
	s_cselect_b32 s0, s52, s1
	s_cselect_b32 s1, s53, s49
	s_cmp_lg_u64 vcc, 0
	s_subb_u32 s48, s27, s48
	s_cmp_ge_u32 s48, s47
	v_readfirstlane_b32 s52, v0
	s_cselect_b32 s49, -1, 0
	s_cmp_ge_u32 s52, s46
	s_cselect_b32 s52, -1, 0
	s_cmp_eq_u32 s48, s47
	s_cselect_b32 s48, s52, s49
	s_cmp_lg_u32 s48, 0
	s_cselect_b32 s1, s1, s33
	s_cselect_b32 s0, s0, s45
	s_cbranch_execnz .LBB0_7
.LBB0_6:                                ;   in Loop: Header=BB0_4 Depth=1
	v_cvt_f32_u32_e32 v0, s46
	s_sub_i32 s0, 0, s46
	v_rcp_iflag_f32_e32 v0, v0
	s_nop 0
	v_mul_f32_e32 v0, 0x4f7ffffe, v0
	v_cvt_u32_f32_e32 v0, v0
	s_nop 0
	v_readfirstlane_b32 s1, v0
	s_mul_i32 s0, s0, s1
	s_mul_hi_u32 s0, s1, s0
	s_add_i32 s1, s1, s0
	s_mul_hi_u32 s0, s26, s1
	s_mul_i32 s33, s0, s46
	s_sub_i32 s33, s26, s33
	s_add_i32 s1, s0, 1
	s_sub_i32 s45, s33, s46
	s_cmp_ge_u32 s33, s46
	s_cselect_b32 s0, s1, s0
	s_cselect_b32 s33, s45, s33
	s_add_i32 s1, s0, 1
	s_cmp_ge_u32 s33, s46
	s_cselect_b32 s0, s1, s0
	s_mov_b32 s1, s44
.LBB0_7:                                ;   in Loop: Header=BB0_4 Depth=1
	s_mul_i32 s33, s46, s35
	s_mul_hi_u32 s35, s46, s34
	s_add_i32 s33, s35, s33
	s_mul_i32 s35, s47, s34
	s_add_i32 s35, s33, s35
	s_mul_i32 s33, s0, s47
	s_mul_hi_u32 s45, s0, s46
	s_load_dwordx2 s[48:49], s[40:41], 0x0
	s_add_i32 s33, s45, s33
	s_mul_i32 s45, s1, s46
	s_add_i32 s33, s33, s45
	s_mul_i32 s45, s0, s46
	s_sub_u32 s45, s26, s45
	s_subb_u32 s33, s27, s33
	s_waitcnt lgkmcnt(0)
	s_mul_i32 s26, s48, s33
	s_mul_hi_u32 s27, s48, s45
	s_mul_i32 s34, s46, s34
	s_add_i32 s46, s27, s26
	s_load_dwordx2 s[26:27], s[38:39], 0x0
	s_mul_i32 s47, s49, s45
	s_add_i32 s46, s46, s47
	s_mul_i32 s47, s48, s45
	s_add_u32 s17, s47, s17
	s_addc_u32 s19, s46, s19
	s_waitcnt lgkmcnt(0)
	s_mul_i32 s33, s26, s33
	s_mul_hi_u32 s46, s26, s45
	s_add_i32 s33, s46, s33
	s_mul_i32 s27, s27, s45
	s_add_i32 s33, s33, s27
	s_mul_i32 s26, s26, s45
	s_add_u32 s24, s26, s24
	s_addc_u32 s25, s33, s25
	s_add_u32 s42, s42, 1
	s_addc_u32 s43, s43, 0
	;; [unrolled: 2-line block ×4, first 2 shown]
	s_add_u32 s20, s20, 8
	v_cmp_ge_u64_e32 vcc, s[42:43], v[2:3]
	s_addc_u32 s21, s21, 0
	s_cbranch_vccnz .LBB0_10
; %bb.8:                                ;   in Loop: Header=BB0_4 Depth=1
	s_mov_b64 s[26:27], s[0:1]
	s_branch .LBB0_4
.LBB0_9:                                ;   in Loop: Header=BB0_4 Depth=1
                                        ; implicit-def: $sgpr0_sgpr1
	s_branch .LBB0_6
.LBB0_10:
	v_mov_b64_e32 v[2:3], s[34:35]
	v_cmp_lt_u64_e32 vcc, s[2:3], v[2:3]
	s_mov_b64 s[26:27], 0
	s_cbranch_vccnz .LBB0_12
; %bb.11:
	v_cvt_f32_u32_e32 v0, s34
	s_sub_i32 s0, 0, s34
	v_rcp_iflag_f32_e32 v0, v0
	s_nop 0
	v_mul_f32_e32 v0, 0x4f7ffffe, v0
	v_cvt_u32_f32_e32 v0, v0
	s_nop 0
	v_readfirstlane_b32 s1, v0
	s_mul_i32 s0, s0, s1
	s_mul_hi_u32 s0, s1, s0
	s_add_i32 s1, s1, s0
	s_mul_hi_u32 s0, s2, s1
	s_mul_i32 s3, s0, s34
	s_sub_i32 s2, s2, s3
	s_add_i32 s1, s0, 1
	s_sub_i32 s3, s2, s34
	s_cmp_ge_u32 s2, s34
	s_cselect_b32 s0, s1, s0
	s_cselect_b32 s2, s3, s2
	s_add_i32 s1, s0, 1
	s_cmp_ge_u32 s2, s34
	s_cselect_b32 s26, s1, s0
.LBB0_12:
	s_lshl_b64 s[0:1], s[14:15], 3
	s_add_u32 s2, s22, s0
	s_addc_u32 s3, s23, s1
	s_load_dwordx2 s[2:3], s[2:3], 0x0
	v_mul_u32_u24_e32 v0, 0x1556, v148
	v_lshrrev_b32_e32 v78, 16, v0
	v_mul_lo_u16_e32 v0, 12, v78
	v_sub_u16_e32 v70, v148, v0
	s_waitcnt lgkmcnt(0)
	s_mul_i32 s2, s2, s26
	s_add_u32 s2, s2, s17
	s_add_u32 s52, s30, s0
	s_addc_u32 s53, s31, s1
	s_mov_b32 s0, 0
	v_mov_b32_e32 v71, s0
	s_add_u32 s0, s36, 12
	s_addc_u32 s1, s37, 0
	v_mov_b64_e32 v[2:3], s[28:29]
	v_lshl_add_u64 v[72:73], s[36:37], 0, v[70:71]
	v_cmp_le_u64_e32 vcc, s[0:1], v[2:3]
	v_mad_u64_u32 v[6:7], s[0:1], s18, v70, 0
	v_cmp_gt_u64_e64 s[0:1], s[28:29], v[72:73]
	v_mov_b64_e32 v[44:45], 0
	s_or_b64 s[54:55], vcc, s[0:1]
	v_mov_b64_e32 v[4:5], v[44:45]
	v_mov_b64_e32 v[2:3], v[44:45]
	s_and_saveexec_b64 s[0:1], s[54:55]
	s_cbranch_execz .LBB0_14
; %bb.13:
	v_mul_lo_u32 v0, s16, v78
	v_add3_u32 v2, s2, v6, v0
	v_mov_b32_e32 v3, 0
	v_lshl_add_u64 v[2:3], v[2:3], 4, s[8:9]
	global_load_dwordx4 v[2:5], v[2:3], off
.LBB0_14:
	s_or_b64 exec, exec, s[0:1]
	v_mov_b64_e32 v[42:43], v[44:45]
	s_and_saveexec_b64 s[0:1], s[54:55]
	s_cbranch_execz .LBB0_16
; %bb.15:
	v_add_u32_e32 v0, 13, v78
	v_mul_lo_u32 v0, s16, v0
	v_add3_u32 v8, s2, v6, v0
	v_mov_b32_e32 v9, 0
	v_lshl_add_u64 v[8:9], v[8:9], 4, s[8:9]
	global_load_dwordx4 v[42:45], v[8:9], off
.LBB0_16:
	s_or_b64 exec, exec, s[0:1]
	v_mov_b64_e32 v[28:29], 0
	v_mov_b64_e32 v[36:37], v[28:29]
	v_mov_b64_e32 v[34:35], v[28:29]
	s_and_saveexec_b64 s[0:1], s[54:55]
	s_cbranch_execz .LBB0_18
; %bb.17:
	v_add_u32_e32 v0, 26, v78
	v_mul_lo_u32 v0, s16, v0
	v_add3_u32 v8, s2, v6, v0
	v_mov_b32_e32 v9, 0
	v_lshl_add_u64 v[8:9], v[8:9], 4, s[8:9]
	global_load_dwordx4 v[34:37], v[8:9], off
.LBB0_18:
	s_or_b64 exec, exec, s[0:1]
	v_mov_b64_e32 v[26:27], v[28:29]
	s_and_saveexec_b64 s[0:1], s[54:55]
	s_cbranch_execz .LBB0_20
; %bb.19:
	v_add_u32_e32 v0, 39, v78
	v_mul_lo_u32 v0, s16, v0
	v_add3_u32 v8, s2, v6, v0
	v_mov_b32_e32 v9, 0
	v_lshl_add_u64 v[8:9], v[8:9], 4, s[8:9]
	global_load_dwordx4 v[26:29], v[8:9], off
.LBB0_20:
	s_or_b64 exec, exec, s[0:1]
	v_mov_b64_e32 v[20:21], 0
	v_mov_b64_e32 v[24:25], v[20:21]
	v_mov_b64_e32 v[22:23], v[20:21]
	s_and_saveexec_b64 s[0:1], s[54:55]
	s_cbranch_execz .LBB0_22
; %bb.21:
	v_add_u32_e32 v0, 52, v78
	v_mul_lo_u32 v0, s16, v0
	v_add3_u32 v8, s2, v6, v0
	v_mov_b32_e32 v9, 0
	v_lshl_add_u64 v[8:9], v[8:9], 4, s[8:9]
	global_load_dwordx4 v[22:25], v[8:9], off
.LBB0_22:
	;; [unrolled: 26-line block ×5, first 2 shown]
	s_or_b64 exec, exec, s[0:1]
	v_mov_b64_e32 v[50:51], v[52:53]
	s_and_saveexec_b64 s[0:1], s[54:55]
	s_cbranch_execz .LBB0_36
; %bb.35:
	v_add_u32_e32 v0, 0x8f, v78
	v_mul_lo_u32 v0, s16, v0
	v_add3_u32 v8, s2, v6, v0
	v_mov_b32_e32 v9, 0
	v_lshl_add_u64 v[8:9], v[8:9], 4, s[8:9]
	global_load_dwordx4 v[50:53], v[8:9], off
.LBB0_36:
	s_or_b64 exec, exec, s[0:1]
	v_mov_b64_e32 v[56:57], 0
	v_mov_b64_e32 v[54:55], v[56:57]
	s_and_saveexec_b64 s[0:1], s[54:55]
	s_cbranch_execz .LBB0_38
; %bb.37:
	v_add_u32_e32 v0, 0x9c, v78
	v_mul_lo_u32 v0, s16, v0
	v_add3_u32 v6, s2, v6, v0
	v_mov_b32_e32 v7, 0
	v_lshl_add_u64 v[6:7], v[6:7], 4, s[8:9]
	global_load_dwordx4 v[54:57], v[6:7], off
.LBB0_38:
	s_or_b64 exec, exec, s[0:1]
	s_waitcnt vmcnt(0)
	v_add_f64 v[6:7], v[2:3], v[42:43]
	v_add_f64 v[8:9], v[4:5], v[44:45]
	;; [unrolled: 1-line block ×20, first 2 shown]
	s_mov_b32 s0, 0xe00740e9
	s_mov_b32 s2, 0x1ea71119
	s_mov_b32 s14, 0xebaa3ed8
	s_mov_b32 s18, 0xb2365da1
	s_mov_b32 s22, 0xd0032e0c
	s_mov_b32 s30, 0x93053d00
	v_add_f64 v[6:7], v[6:7], v[50:51]
	v_add_f64 v[8:9], v[8:9], v[52:53]
	;; [unrolled: 1-line block ×3, first 2 shown]
	s_mov_b32 s1, 0x3fec55a7
	s_mov_b32 s36, 0x4267c47c
	;; [unrolled: 1-line block ×12, first 2 shown]
	v_add_f64 v[6:7], v[6:7], v[54:55]
	v_add_f64 v[8:9], v[8:9], v[56:57]
	;; [unrolled: 1-line block ×3, first 2 shown]
	v_add_f64 v[60:61], v[42:43], -v[54:55]
	v_add_f64 v[56:57], v[44:45], -v[56:57]
	v_add_f64 v[54:55], v[34:35], v[50:51]
	v_add_f64 v[42:43], v[36:37], v[52:53]
	v_add_f64 v[44:45], v[34:35], -v[50:51]
	v_add_f64 v[34:35], v[36:37], -v[52:53]
	v_add_f64 v[50:51], v[26:27], v[46:47]
	v_add_f64 v[36:37], v[28:29], v[48:49]
	;; [unrolled: 4-line block ×3, first 2 shown]
	v_add_f64 v[38:39], v[22:23], -v[38:39]
	v_add_f64 v[22:23], v[24:25], -v[40:41]
	v_add_f64 v[52:53], v[18:19], v[30:31]
	v_add_f64 v[40:41], v[18:19], -v[30:31]
	v_add_f64 v[68:69], v[14:15], v[10:11]
	v_add_f64 v[66:67], v[14:15], -v[10:11]
	s_mov_b32 s37, 0x3fddbe06
	s_mov_b32 s9, 0xbfddbe06
	s_mov_b32 s8, s36
	v_mul_f64 v[10:11], v[62:63], s[0:1]
	s_mov_b32 s47, 0x3fea55e2
	s_mov_b32 s17, 0xbfea55e2
	s_mov_b32 s16, s46
	v_mul_f64 v[14:15], v[62:63], s[2:3]
	;; [unrolled: 4-line block ×5, first 2 shown]
	v_mul_f64 v[84:85], v[62:63], s[30:31]
	s_mov_b32 s49, 0x3fcea1e5
	s_mov_b32 s39, 0xbfcea1e5
	;; [unrolled: 1-line block ×3, first 2 shown]
	v_add_f64 v[24:25], v[20:21], v[32:33]
	v_add_f64 v[30:31], v[20:21], -v[32:33]
	v_add_f64 v[32:33], v[16:17], v[12:13]
	v_add_f64 v[64:65], v[16:17], -v[12:13]
	v_fma_f64 v[12:13], s[36:37], v[56:57], v[10:11]
	v_fmac_f64_e32 v[10:11], s[8:9], v[56:57]
	v_fma_f64 v[16:17], s[46:47], v[56:57], v[14:15]
	v_fmac_f64_e32 v[14:15], s[16:17], v[56:57]
	;; [unrolled: 2-line block ×6, first 2 shown]
	v_mul_f64 v[56:57], v[60:61], s[8:9]
	v_mul_f64 v[88:89], v[60:61], s[16:17]
	;; [unrolled: 1-line block ×6, first 2 shown]
	v_fma_f64 v[86:87], s[0:1], v[58:59], v[56:57]
	v_fma_f64 v[56:57], v[58:59], s[0:1], -v[56:57]
	v_fma_f64 v[90:91], s[2:3], v[58:59], v[88:89]
	v_fma_f64 v[88:89], v[58:59], s[2:3], -v[88:89]
	;; [unrolled: 2-line block ×6, first 2 shown]
	v_add_f64 v[12:13], v[2:3], v[12:13]
	v_add_f64 v[108:109], v[2:3], v[10:11]
	;; [unrolled: 1-line block ×12, first 2 shown]
	v_mul_f64 v[2:3], v[54:55], s[2:3]
	v_add_f64 v[86:87], v[4:5], v[86:87]
	v_add_f64 v[110:111], v[4:5], v[56:57]
	;; [unrolled: 1-line block ×12, first 2 shown]
	v_fma_f64 v[4:5], s[46:47], v[34:35], v[2:3]
	v_mul_f64 v[18:19], v[44:45], s[16:17]
	v_mul_f64 v[20:21], v[50:51], s[14:15]
	v_add_f64 v[4:5], v[4:5], v[12:13]
	v_fma_f64 v[10:11], s[2:3], v[42:43], v[18:19]
	v_fma_f64 v[12:13], s[40:41], v[26:27], v[20:21]
	v_mul_f64 v[80:81], v[46:47], s[20:21]
	v_add_f64 v[10:11], v[10:11], v[86:87]
	v_add_f64 v[4:5], v[12:13], v[4:5]
	v_fma_f64 v[12:13], s[14:15], v[36:37], v[80:81]
	v_mul_f64 v[82:83], v[48:49], s[18:19]
	v_add_f64 v[10:11], v[12:13], v[10:11]
	v_fma_f64 v[12:13], s[44:45], v[22:23], v[82:83]
	v_mul_f64 v[84:85], v[38:39], s[28:29]
	;; [unrolled: 3-line block ×3, first 2 shown]
	v_fmac_f64_e32 v[2:3], s[16:17], v[34:35]
	v_add_f64 v[10:11], v[12:13], v[10:11]
	v_fma_f64 v[12:13], s[42:43], v[30:31], v[86:87]
	v_mul_f64 v[100:101], v[40:41], s[34:35]
	v_add_f64 v[2:3], v[2:3], v[108:109]
	v_fma_f64 v[18:19], v[42:43], s[2:3], -v[18:19]
	v_fmac_f64_e32 v[20:21], s[20:21], v[26:27]
	v_add_f64 v[4:5], v[12:13], v[4:5]
	v_fma_f64 v[12:13], s[22:23], v[24:25], v[100:101]
	v_mul_f64 v[104:105], v[68:69], s[30:31]
	v_add_f64 v[18:19], v[18:19], v[110:111]
	v_add_f64 v[2:3], v[20:21], v[2:3]
	v_fma_f64 v[20:21], v[36:37], s[14:15], -v[80:81]
	v_add_f64 v[12:13], v[12:13], v[10:11]
	v_fma_f64 v[10:11], s[48:49], v[64:65], v[104:105]
	v_add_f64 v[18:19], v[20:21], v[18:19]
	v_fma_f64 v[20:21], v[28:29], s[18:19], -v[84:85]
	v_add_f64 v[10:11], v[10:11], v[4:5]
	v_mul_f64 v[4:5], v[66:67], s[38:39]
	v_add_f64 v[18:19], v[20:21], v[18:19]
	v_fma_f64 v[20:21], v[24:25], s[22:23], -v[100:101]
	v_fma_f64 v[106:107], s[30:31], v[32:33], v[4:5]
	v_fmac_f64_e32 v[82:83], s[28:29], v[22:23]
	v_add_f64 v[18:19], v[20:21], v[18:19]
	v_fma_f64 v[4:5], v[32:33], s[30:31], -v[4:5]
	v_mul_f64 v[80:81], v[54:55], s[18:19]
	v_add_f64 v[2:3], v[82:83], v[2:3]
	v_fmac_f64_e32 v[86:87], s[34:35], v[30:31]
	v_add_f64 v[4:5], v[4:5], v[18:19]
	v_fma_f64 v[18:19], s[44:45], v[34:35], v[80:81]
	v_mul_f64 v[82:83], v[44:45], s[28:29]
	v_mul_f64 v[84:85], v[50:51], s[30:31]
	v_add_f64 v[2:3], v[86:87], v[2:3]
	v_add_f64 v[16:17], v[18:19], v[16:17]
	v_fma_f64 v[18:19], s[18:19], v[42:43], v[82:83]
	v_fma_f64 v[20:21], s[48:49], v[26:27], v[84:85]
	v_mul_f64 v[86:87], v[46:47], s[38:39]
	v_add_f64 v[18:19], v[18:19], v[90:91]
	v_add_f64 v[16:17], v[20:21], v[16:17]
	v_fma_f64 v[20:21], s[30:31], v[36:37], v[86:87]
	v_mul_f64 v[90:91], v[48:49], s[22:23]
	v_fmac_f64_e32 v[104:105], s[38:39], v[64:65]
	v_add_f64 v[18:19], v[20:21], v[18:19]
	v_fma_f64 v[20:21], s[34:35], v[22:23], v[90:91]
	v_mul_f64 v[100:101], v[38:39], s[42:43]
	v_add_f64 v[2:3], v[104:105], v[2:3]
	v_add_f64 v[16:17], v[20:21], v[16:17]
	v_fma_f64 v[20:21], s[22:23], v[28:29], v[100:101]
	v_mul_f64 v[104:105], v[52:53], s[14:15]
	v_fmac_f64_e32 v[80:81], s[28:29], v[34:35]
	v_add_f64 v[12:13], v[106:107], v[12:13]
	v_add_f64 v[18:19], v[20:21], v[18:19]
	v_fma_f64 v[20:21], s[20:21], v[30:31], v[104:105]
	v_mul_f64 v[106:107], v[40:41], s[40:41]
	v_add_f64 v[14:15], v[80:81], v[14:15]
	v_fma_f64 v[80:81], v[42:43], s[18:19], -v[82:83]
	v_add_f64 v[16:17], v[20:21], v[16:17]
	v_fma_f64 v[20:21], s[14:15], v[24:25], v[106:107]
	v_mul_f64 v[108:109], v[68:69], s[0:1]
	v_add_f64 v[80:81], v[80:81], v[88:89]
	v_fma_f64 v[82:83], v[36:37], s[30:31], -v[86:87]
	v_add_f64 v[20:21], v[20:21], v[18:19]
	v_fma_f64 v[18:19], s[8:9], v[64:65], v[108:109]
	v_add_f64 v[80:81], v[82:83], v[80:81]
	v_fma_f64 v[82:83], v[28:29], s[22:23], -v[100:101]
	v_add_f64 v[18:19], v[18:19], v[16:17]
	v_mul_f64 v[16:17], v[66:67], s[36:37]
	v_fmac_f64_e32 v[84:85], s[38:39], v[26:27]
	v_add_f64 v[80:81], v[82:83], v[80:81]
	v_fma_f64 v[82:83], v[24:25], s[14:15], -v[106:107]
	v_fma_f64 v[110:111], s[0:1], v[32:33], v[16:17]
	v_add_f64 v[14:15], v[84:85], v[14:15]
	v_add_f64 v[80:81], v[82:83], v[80:81]
	v_fma_f64 v[16:17], v[32:33], s[0:1], -v[16:17]
	v_mul_f64 v[84:85], v[54:55], s[30:31]
	v_fmac_f64_e32 v[90:91], s[42:43], v[22:23]
	v_add_f64 v[16:17], v[16:17], v[80:81]
	v_fma_f64 v[80:81], s[48:49], v[34:35], v[84:85]
	v_mul_f64 v[88:89], v[50:51], s[18:19]
	v_add_f64 v[14:15], v[90:91], v[14:15]
	v_add_f64 v[80:81], v[80:81], v[112:113]
	v_mul_f64 v[86:87], v[44:45], s[38:39]
	v_fma_f64 v[90:91], s[28:29], v[26:27], v[88:89]
	v_fma_f64 v[82:83], s[30:31], v[42:43], v[86:87]
	v_add_f64 v[80:81], v[90:91], v[80:81]
	v_mul_f64 v[90:91], v[46:47], s[44:45]
	v_add_f64 v[82:83], v[82:83], v[94:95]
	v_fma_f64 v[94:95], s[18:19], v[36:37], v[90:91]
	v_add_f64 v[82:83], v[94:95], v[82:83]
	v_mul_f64 v[94:95], v[48:49], s[0:1]
	v_fma_f64 v[100:101], s[8:9], v[22:23], v[94:95]
	v_fmac_f64_e32 v[104:105], s[40:41], v[30:31]
	v_add_f64 v[80:81], v[100:101], v[80:81]
	v_mul_f64 v[100:101], v[38:39], s[36:37]
	v_add_f64 v[14:15], v[104:105], v[14:15]
	v_fma_f64 v[104:105], s[0:1], v[28:29], v[100:101]
	v_add_f64 v[82:83], v[104:105], v[82:83]
	v_mul_f64 v[104:105], v[52:53], s[2:3]
	v_fma_f64 v[106:107], s[46:47], v[30:31], v[104:105]
	v_fmac_f64_e32 v[108:109], s[36:37], v[64:65]
	v_add_f64 v[80:81], v[106:107], v[80:81]
	v_mul_f64 v[106:107], v[40:41], s[16:17]
	v_fmac_f64_e32 v[84:85], s[38:39], v[34:35]
	v_add_f64 v[14:15], v[108:109], v[14:15]
	v_fma_f64 v[108:109], s[2:3], v[24:25], v[106:107]
	v_add_f64 v[84:85], v[84:85], v[114:115]
	v_fma_f64 v[86:87], v[42:43], s[30:31], -v[86:87]
	v_fmac_f64_e32 v[88:89], s[44:45], v[26:27]
	v_add_f64 v[82:83], v[108:109], v[82:83]
	v_mul_f64 v[108:109], v[68:69], s[22:23]
	v_add_f64 v[86:87], v[86:87], v[92:93]
	v_add_f64 v[84:85], v[88:89], v[84:85]
	v_fma_f64 v[88:89], v[36:37], s[18:19], -v[90:91]
	v_add_f64 v[20:21], v[110:111], v[20:21]
	v_fma_f64 v[110:111], s[42:43], v[64:65], v[108:109]
	v_add_f64 v[86:87], v[88:89], v[86:87]
	v_fmac_f64_e32 v[94:95], s[36:37], v[22:23]
	v_fma_f64 v[88:89], v[28:29], s[0:1], -v[100:101]
	v_add_f64 v[80:81], v[110:111], v[80:81]
	v_mul_f64 v[110:111], v[66:67], s[34:35]
	v_add_f64 v[84:85], v[94:95], v[84:85]
	v_add_f64 v[86:87], v[88:89], v[86:87]
	v_fma_f64 v[88:89], v[24:25], s[2:3], -v[106:107]
	v_mul_f64 v[94:95], v[44:45], s[42:43]
	v_add_f64 v[86:87], v[88:89], v[86:87]
	v_fma_f64 v[88:89], v[32:33], s[22:23], -v[110:111]
	v_mul_f64 v[92:93], v[54:55], s[22:23]
	v_fma_f64 v[90:91], s[22:23], v[42:43], v[94:95]
	v_add_f64 v[86:87], v[88:89], v[86:87]
	v_fma_f64 v[88:89], s[34:35], v[34:35], v[92:93]
	v_add_f64 v[90:91], v[90:91], v[98:99]
	v_mul_f64 v[98:99], v[50:51], s[0:1]
	v_add_f64 v[88:89], v[88:89], v[116:117]
	v_fma_f64 v[100:101], s[8:9], v[26:27], v[98:99]
	v_fmac_f64_e32 v[104:105], s[16:17], v[30:31]
	v_add_f64 v[88:89], v[100:101], v[88:89]
	v_mul_f64 v[100:101], v[46:47], s[36:37]
	v_add_f64 v[84:85], v[104:105], v[84:85]
	v_fma_f64 v[104:105], s[0:1], v[36:37], v[100:101]
	v_add_f64 v[90:91], v[104:105], v[90:91]
	v_mul_f64 v[104:105], v[48:49], s[14:15]
	v_fma_f64 v[106:107], s[40:41], v[22:23], v[104:105]
	v_fmac_f64_e32 v[108:109], s[34:35], v[64:65]
	v_add_f64 v[88:89], v[106:107], v[88:89]
	v_mul_f64 v[106:107], v[38:39], s[20:21]
	v_add_f64 v[84:85], v[108:109], v[84:85]
	v_fma_f64 v[108:109], s[14:15], v[28:29], v[106:107]
	v_add_f64 v[90:91], v[108:109], v[90:91]
	v_mul_f64 v[108:109], v[52:53], s[30:31]
	v_fma_f64 v[112:113], s[22:23], v[32:33], v[110:111]
	v_fma_f64 v[110:111], s[38:39], v[30:31], v[108:109]
	v_add_f64 v[88:89], v[110:111], v[88:89]
	v_mul_f64 v[110:111], v[40:41], s[48:49]
	v_add_f64 v[82:83], v[112:113], v[82:83]
	v_fma_f64 v[112:113], s[30:31], v[24:25], v[110:111]
	v_fmac_f64_e32 v[92:93], s[42:43], v[34:35]
	v_fma_f64 v[94:95], v[42:43], s[22:23], -v[94:95]
	v_add_f64 v[90:91], v[112:113], v[90:91]
	v_mul_f64 v[112:113], v[68:69], s[2:3]
	v_add_f64 v[92:93], v[92:93], v[118:119]
	v_add_f64 v[94:95], v[94:95], v[96:97]
	v_fmac_f64_e32 v[98:99], s[36:37], v[26:27]
	v_fma_f64 v[96:97], v[36:37], s[0:1], -v[100:101]
	v_fma_f64 v[114:115], s[16:17], v[64:65], v[112:113]
	v_add_f64 v[92:93], v[98:99], v[92:93]
	v_add_f64 v[94:95], v[96:97], v[94:95]
	v_fmac_f64_e32 v[104:105], s[20:21], v[22:23]
	v_fma_f64 v[96:97], v[28:29], s[14:15], -v[106:107]
	v_add_f64 v[88:89], v[114:115], v[88:89]
	v_mul_f64 v[114:115], v[66:67], s[46:47]
	v_add_f64 v[92:93], v[104:105], v[92:93]
	v_add_f64 v[94:95], v[96:97], v[94:95]
	v_fma_f64 v[96:97], v[24:25], s[30:31], -v[110:111]
	v_mul_f64 v[104:105], v[44:45], s[40:41]
	v_add_f64 v[94:95], v[96:97], v[94:95]
	v_fma_f64 v[96:97], v[32:33], s[2:3], -v[114:115]
	v_mul_f64 v[100:101], v[54:55], s[14:15]
	v_fma_f64 v[98:99], s[14:15], v[42:43], v[104:105]
	v_add_f64 v[94:95], v[96:97], v[94:95]
	v_fma_f64 v[96:97], s[20:21], v[34:35], v[100:101]
	v_add_f64 v[98:99], v[98:99], v[102:103]
	v_mul_f64 v[102:103], v[50:51], s[2:3]
	v_add_f64 v[96:97], v[96:97], v[120:121]
	v_fma_f64 v[106:107], s[46:47], v[26:27], v[102:103]
	v_fmac_f64_e32 v[108:109], s[48:49], v[30:31]
	v_add_f64 v[96:97], v[106:107], v[96:97]
	v_mul_f64 v[106:107], v[46:47], s[16:17]
	v_add_f64 v[92:93], v[108:109], v[92:93]
	v_fma_f64 v[108:109], s[2:3], v[36:37], v[106:107]
	v_add_f64 v[98:99], v[108:109], v[98:99]
	v_mul_f64 v[108:109], v[48:49], s[30:31]
	v_fma_f64 v[110:111], s[38:39], v[22:23], v[108:109]
	v_fmac_f64_e32 v[112:113], s[46:47], v[64:65]
	v_add_f64 v[96:97], v[110:111], v[96:97]
	v_mul_f64 v[110:111], v[38:39], s[48:49]
	v_add_f64 v[92:93], v[112:113], v[92:93]
	v_fma_f64 v[112:113], s[30:31], v[28:29], v[110:111]
	v_add_f64 v[98:99], v[112:113], v[98:99]
	v_mul_f64 v[112:113], v[52:53], s[0:1]
	v_fma_f64 v[116:117], s[2:3], v[32:33], v[114:115]
	v_fma_f64 v[114:115], s[8:9], v[30:31], v[112:113]
	v_add_f64 v[96:97], v[114:115], v[96:97]
	v_mul_f64 v[114:115], v[40:41], s[36:37]
	v_fmac_f64_e32 v[100:101], s[40:41], v[34:35]
	v_add_f64 v[90:91], v[116:117], v[90:91]
	v_fma_f64 v[116:117], s[0:1], v[24:25], v[114:115]
	v_add_f64 v[76:77], v[100:101], v[76:77]
	v_fma_f64 v[100:101], v[42:43], s[14:15], -v[104:105]
	v_fmac_f64_e32 v[102:103], s[16:17], v[26:27]
	v_add_f64 v[98:99], v[116:117], v[98:99]
	v_mul_f64 v[116:117], v[68:69], s[18:19]
	v_add_f64 v[74:75], v[100:101], v[74:75]
	v_add_f64 v[76:77], v[102:103], v[76:77]
	v_fma_f64 v[100:101], v[36:37], s[2:3], -v[106:107]
	v_fmac_f64_e32 v[108:109], s[48:49], v[22:23]
	v_fma_f64 v[118:119], s[44:45], v[64:65], v[116:117]
	v_add_f64 v[74:75], v[100:101], v[74:75]
	v_add_f64 v[76:77], v[108:109], v[76:77]
	v_fma_f64 v[100:101], v[28:29], s[30:31], -v[110:111]
	v_fmac_f64_e32 v[112:113], s[36:37], v[30:31]
	v_add_f64 v[96:97], v[118:119], v[96:97]
	v_mul_f64 v[118:119], v[66:67], s[28:29]
	v_add_f64 v[74:75], v[100:101], v[74:75]
	v_add_f64 v[76:77], v[112:113], v[76:77]
	v_fma_f64 v[100:101], v[24:25], s[0:1], -v[114:115]
	v_fmac_f64_e32 v[116:117], s[28:29], v[64:65]
	v_add_f64 v[100:101], v[100:101], v[74:75]
	v_add_f64 v[74:75], v[116:117], v[76:77]
	v_fma_f64 v[76:77], v[32:33], s[18:19], -v[118:119]
	v_mul_f64 v[54:55], v[54:55], s[0:1]
	v_add_f64 v[76:77], v[76:77], v[100:101]
	v_fma_f64 v[100:101], s[8:9], v[34:35], v[54:55]
	v_mul_f64 v[44:45], v[44:45], s[36:37]
	v_add_f64 v[62:63], v[100:101], v[62:63]
	v_fma_f64 v[100:101], s[0:1], v[42:43], v[44:45]
	;; [unrolled: 3-line block ×5, first 2 shown]
	v_add_f64 v[62:63], v[100:101], v[62:63]
	v_mul_f64 v[100:101], v[38:39], s[46:47]
	v_fma_f64 v[38:39], s[2:3], v[28:29], v[100:101]
	v_mul_f64 v[52:53], v[52:53], s[18:19]
	v_add_f64 v[38:39], v[38:39], v[60:61]
	v_fma_f64 v[60:61], s[44:45], v[30:31], v[52:53]
	v_fmac_f64_e32 v[54:55], s[36:37], v[34:35]
	v_add_f64 v[60:61], v[60:61], v[62:63]
	v_mul_f64 v[62:63], v[40:41], s[28:29]
	v_add_f64 v[34:35], v[54:55], v[58:59]
	v_fma_f64 v[42:43], v[42:43], s[0:1], -v[44:45]
	v_fmac_f64_e32 v[50:51], s[34:35], v[26:27]
	s_load_dwordx2 s[52:53], s[52:53], 0x0
	v_fma_f64 v[40:41], s[18:19], v[24:25], v[62:63]
	v_mul_f64 v[68:69], v[68:69], s[14:15]
	v_add_f64 v[42:43], v[42:43], v[56:57]
	v_add_f64 v[26:27], v[50:51], v[34:35]
	v_fma_f64 v[34:35], v[36:37], s[22:23], -v[46:47]
	v_fmac_f64_e32 v[48:49], s[46:47], v[22:23]
	v_add_f64 v[40:41], v[40:41], v[38:39]
	v_fma_f64 v[38:39], s[20:21], v[64:65], v[68:69]
	v_add_f64 v[34:35], v[34:35], v[42:43]
	v_add_f64 v[22:23], v[48:49], v[26:27]
	v_fma_f64 v[26:27], v[28:29], s[2:3], -v[100:101]
	s_movk_i32 s27, 0x9c0
	v_add_f64 v[38:39], v[38:39], v[60:61]
	v_mul_f64 v[60:61], v[66:67], s[40:41]
	v_add_f64 v[26:27], v[26:27], v[34:35]
	v_fmac_f64_e32 v[52:53], s[28:29], v[30:31]
	v_fma_f64 v[24:25], v[24:25], s[18:19], -v[62:63]
	v_mad_u32_u24 v42, v78, s27, 0
	v_fma_f64 v[120:121], s[18:19], v[32:33], v[118:119]
	v_fma_f64 v[66:67], s[14:15], v[32:33], v[60:61]
	v_add_f64 v[22:23], v[52:53], v[22:23]
	v_add_f64 v[24:25], v[24:25], v[26:27]
	v_fmac_f64_e32 v[68:69], s[40:41], v[64:65]
	v_fma_f64 v[26:27], v[32:33], s[14:15], -v[60:61]
	v_lshl_add_u32 v0, v70, 4, v42
	v_add_f64 v[98:99], v[120:121], v[98:99]
	v_add_f64 v[40:41], v[66:67], v[40:41]
	;; [unrolled: 1-line block ×4, first 2 shown]
	ds_write_b128 v0, v[6:9]
	ds_write_b128 v0, v[10:13] offset:192
	ds_write_b128 v0, v[18:21] offset:384
	;; [unrolled: 1-line block ×12, first 2 shown]
	s_waitcnt lgkmcnt(0)
	s_barrier
	s_and_saveexec_b64 s[56:57], s[54:55]
	s_cbranch_execz .LBB0_40
; %bb.39:
	v_mul_lo_u16_e32 v0, 20, v78
	v_mov_b32_e32 v1, 13
	v_mul_lo_u16_sdwa v0, v0, v1 dst_sel:DWORD dst_unused:UNUSED_PAD src0_sel:BYTE_1 src1_sel:DWORD
	v_sub_u16_e32 v0, v78, v0
	v_and_b32_e32 v149, 0xff, v0
	v_mul_u32_u24_e32 v0, 12, v149
	v_lshlrev_b32_e32 v0, 4, v0
	global_load_dwordx4 v[6:9], v0, s[50:51] offset:80
	global_load_dwordx4 v[2:5], v0, s[50:51] offset:96
	global_load_dwordx4 v[14:17], v0, s[50:51] offset:64
	global_load_dwordx4 v[10:13], v0, s[50:51] offset:112
	global_load_dwordx4 v[18:21], v0, s[50:51] offset:48
	global_load_dwordx4 v[38:41], v0, s[50:51] offset:128
	global_load_dwordx4 v[30:33], v0, s[50:51] offset:32
	global_load_dwordx4 v[34:37], v0, s[50:51] offset:144
	global_load_dwordx4 v[26:29], v0, s[50:51] offset:16
	global_load_dwordx4 v[22:25], v0, s[50:51] offset:160
	v_mul_i32_i24_e32 v1, 0xfffff700, v78
	v_lshlrev_b32_e32 v43, 4, v70
	v_add3_u32 v1, v42, v1, v43
	global_load_dwordx4 v[46:49], v0, s[50:51]
	ds_read_b128 v[50:53], v1 offset:14976
	ds_read_b128 v[54:57], v1 offset:17472
	;; [unrolled: 1-line block ×10, first 2 shown]
	global_load_dwordx4 v[144:147], v0, s[50:51] offset:176
	v_add_u32_e32 v0, 0x9c, v149
	v_mov_b32_e32 v71, 4
	v_mul_lo_u32 v0, v72, v0
	v_mov_b32_e32 v73, 0x1000
	v_lshlrev_b32_sdwa v42, v71, v0 dst_sel:DWORD dst_unused:UNUSED_PAD src0_sel:DWORD src1_sel:BYTE_0
	v_bfe_u32 v0, v0, 8, 8
	v_lshl_or_b32 v0, v0, 4, v73
	global_load_dwordx4 v[42:45], v42, s[12:13]
	s_nop 0
	global_load_dwordx4 v[170:173], v0, s[12:13]
	v_add_u32_e32 v0, 0x8f, v149
	v_mul_lo_u32 v0, v72, v0
	s_mul_i32 s27, s53, s26
	s_mul_hi_u32 s33, s52, s26
	s_add_i32 s27, s33, s27
	s_mul_i32 s26, s52, s26
	s_waitcnt vmcnt(13) lgkmcnt(9)
	v_mul_f64 v[90:91], v[50:51], v[8:9]
	s_waitcnt vmcnt(12) lgkmcnt(8)
	v_mul_f64 v[92:93], v[54:55], v[4:5]
	v_mul_f64 v[8:9], v[52:53], v[8:9]
	;; [unrolled: 1-line block ×3, first 2 shown]
	s_waitcnt vmcnt(10) lgkmcnt(5)
	v_mul_f64 v[94:95], v[66:67], v[12:13]
	v_mul_f64 v[12:13], v[68:69], v[12:13]
	s_waitcnt vmcnt(7) lgkmcnt(3)
	v_mul_f64 v[108:109], v[112:113], v[32:33]
	v_mul_f64 v[32:33], v[114:115], v[32:33]
	v_fmac_f64_e32 v[90:91], v[52:53], v[6:7]
	v_fmac_f64_e32 v[92:93], v[56:57], v[2:3]
	v_fma_f64 v[74:75], v[50:51], v[6:7], -v[8:9]
	v_fma_f64 v[76:77], v[54:55], v[2:3], -v[4:5]
	s_waitcnt vmcnt(5) lgkmcnt(2)
	v_mul_f64 v[2:3], v[136:137], v[28:29]
	s_waitcnt vmcnt(4) lgkmcnt(0)
	v_mul_f64 v[6:7], v[140:141], v[24:25]
	v_mul_f64 v[110:111], v[134:135], v[28:29]
	v_fmac_f64_e32 v[94:95], v[68:69], v[10:11]
	v_fma_f64 v[78:79], v[66:67], v[10:11], -v[12:13]
	v_fma_f64 v[88:89], v[112:113], v[30:31], -v[32:33]
	v_mul_f64 v[112:113], v[138:139], v[24:25]
	v_fma_f64 v[106:107], v[134:135], v[26:27], -v[2:3]
	ds_read_b128 v[2:5], v1 offset:2496
	v_fma_f64 v[100:101], v[138:139], v[22:23], -v[6:7]
	ds_read_b128 v[6:9], v1
	ds_read_b128 v[10:13], v1 offset:29952
	v_lshlrev_b32_sdwa v1, v71, v0 dst_sel:DWORD dst_unused:UNUSED_PAD src0_sel:DWORD src1_sel:BYTE_0
	v_bfe_u32 v0, v0, 8, 8
	v_fmac_f64_e32 v[110:111], v[136:137], v[26:27]
	v_fmac_f64_e32 v[112:113], v[140:141], v[22:23]
	v_lshl_or_b32 v0, v0, 4, v73
	global_load_dwordx4 v[22:25], v1, s[12:13]
	global_load_dwordx4 v[26:29], v0, s[12:13]
	v_mul_f64 v[98:99], v[82:83], v[40:41]
	v_mul_f64 v[102:103], v[116:117], v[36:37]
	v_mul_f64 v[36:37], v[118:119], v[36:37]
	v_mul_f64 v[40:41], v[84:85], v[40:41]
	v_fmac_f64_e32 v[98:99], v[84:85], v[38:39]
	v_fma_f64 v[84:85], v[116:117], v[34:35], -v[36:37]
	s_waitcnt vmcnt(5) lgkmcnt(2)
	v_mul_f64 v[116:117], v[2:3], v[48:49]
	v_fmac_f64_e32 v[116:117], v[4:5], v[46:47]
	s_waitcnt vmcnt(4) lgkmcnt(0)
	v_mul_f64 v[140:141], v[10:11], v[146:147]
	v_mul_f64 v[4:5], v[4:5], v[48:49]
	v_fmac_f64_e32 v[140:141], v[12:13], v[144:145]
	v_fma_f64 v[138:139], v[2:3], v[46:47], -v[4:5]
	v_mul_f64 v[2:3], v[12:13], v[146:147]
	v_add_f64 v[50:51], v[116:117], v[140:141]
	v_fma_f64 v[136:137], v[10:11], v[144:145], -v[2:3]
	v_mul_f64 v[104:105], v[62:63], v[20:21]
	v_fma_f64 v[82:83], v[82:83], v[38:39], -v[40:41]
	v_fmac_f64_e32 v[108:109], v[114:115], v[30:31]
	v_fmac_f64_e32 v[102:103], v[118:119], v[34:35]
	v_add_f64 v[38:39], v[110:111], v[112:113]
	v_mul_f64 v[142:143], v[50:51], s[0:1]
	v_add_f64 v[144:145], v[138:139], -v[136:137]
	v_mul_f64 v[96:97], v[58:59], v[16:17]
	v_mul_f64 v[20:21], v[64:65], v[20:21]
	v_fmac_f64_e32 v[104:105], v[64:65], v[18:19]
	v_add_f64 v[36:37], v[108:109], v[102:103]
	v_mul_f64 v[132:133], v[38:39], s[2:3]
	v_add_f64 v[134:135], v[106:107], -v[100:101]
	v_fma_f64 v[2:3], s[36:37], v[144:145], v[142:143]
	v_mul_f64 v[16:17], v[60:61], v[16:17]
	v_fmac_f64_e32 v[96:97], v[60:61], v[14:15]
	v_fma_f64 v[86:87], v[62:63], v[18:19], -v[20:21]
	v_add_f64 v[34:35], v[104:105], v[98:99]
	v_add_f64 v[130:131], v[88:89], -v[84:85]
	v_mul_f64 v[128:129], v[36:37], s[14:15]
	v_fma_f64 v[40:41], s[46:47], v[134:135], v[132:133]
	v_add_f64 v[2:3], v[8:9], v[2:3]
	v_add_f64 v[56:57], v[116:117], -v[140:141]
	v_fma_f64 v[80:81], v[58:59], v[14:15], -v[16:17]
	v_add_f64 v[32:33], v[96:97], v[94:95]
	v_add_f64 v[126:127], v[86:87], -v[82:83]
	v_mul_f64 v[122:123], v[34:35], s[18:19]
	v_fma_f64 v[20:21], s[40:41], v[130:131], v[128:129]
	v_add_f64 v[2:3], v[40:41], v[2:3]
	v_add_f64 v[54:55], v[110:111], -v[112:113]
	v_add_f64 v[166:167], v[138:139], v[136:137]
	v_mul_f64 v[168:169], v[56:57], s[8:9]
	v_add_f64 v[30:31], v[90:91], v[92:93]
	v_add_f64 v[124:125], v[80:81], -v[78:79]
	v_mul_f64 v[118:119], v[32:33], s[22:23]
	v_fma_f64 v[18:19], s[44:45], v[126:127], v[122:123]
	v_add_f64 v[2:3], v[20:21], v[2:3]
	v_add_f64 v[52:53], v[108:109], -v[102:103]
	v_add_f64 v[162:163], v[106:107], v[100:101]
	v_mul_f64 v[164:165], v[54:55], s[16:17]
	v_fma_f64 v[20:21], s[0:1], v[166:167], v[168:169]
	v_add_f64 v[120:121], v[74:75], -v[76:77]
	v_mul_f64 v[114:115], v[30:31], s[30:31]
	v_fma_f64 v[16:17], s[42:43], v[124:125], v[118:119]
	v_add_f64 v[2:3], v[18:19], v[2:3]
	v_add_f64 v[48:49], v[104:105], -v[98:99]
	v_add_f64 v[158:159], v[88:89], v[84:85]
	v_mul_f64 v[160:161], v[52:53], s[20:21]
	v_fma_f64 v[18:19], s[2:3], v[162:163], v[164:165]
	v_add_f64 v[20:21], v[6:7], v[20:21]
	v_fma_f64 v[14:15], s[48:49], v[120:121], v[114:115]
	v_add_f64 v[2:3], v[16:17], v[2:3]
	v_add_f64 v[40:41], v[90:91], -v[92:93]
	v_add_f64 v[46:47], v[96:97], -v[94:95]
	v_add_f64 v[154:155], v[86:87], v[82:83]
	v_mul_f64 v[156:157], v[48:49], s[28:29]
	v_fma_f64 v[16:17], s[14:15], v[158:159], v[160:161]
	v_add_f64 v[18:19], v[18:19], v[20:21]
	v_add_f64 v[2:3], v[14:15], v[2:3]
	v_mul_f64 v[0:1], v[40:41], s[38:39]
	v_add_f64 v[150:151], v[80:81], v[78:79]
	v_mul_f64 v[152:153], v[46:47], s[34:35]
	v_fma_f64 v[14:15], s[18:19], v[154:155], v[156:157]
	v_add_f64 v[16:17], v[16:17], v[18:19]
	s_waitcnt vmcnt(2)
	v_mul_f64 v[4:5], v[44:45], v[172:173]
	v_add_f64 v[146:147], v[74:75], v[76:77]
	v_accvgpr_write_b32 a0, v0
	v_fma_f64 v[12:13], s[22:23], v[150:151], v[152:153]
	v_add_f64 v[14:15], v[14:15], v[16:17]
	v_fma_f64 v[10:11], v[42:43], v[170:171], -v[4:5]
	v_fma_f64 v[4:5], s[30:31], v[146:147], v[0:1]
	v_accvgpr_write_b32 a1, v1
	v_add_f64 v[12:13], v[12:13], v[14:15]
	v_mul_f64 v[14:15], v[42:43], v[172:173]
	v_add_u32_e32 v0, 0x82, v149
	v_add_f64 v[12:13], v[4:5], v[12:13]
	v_fmac_f64_e32 v[14:15], v[44:45], v[170:171]
	v_mul_lo_u32 v0, v72, v0
	v_mul_f64 v[4:5], v[12:13], v[14:15]
	v_lshlrev_b32_sdwa v1, v71, v0 dst_sel:DWORD dst_unused:UNUSED_PAD src0_sel:DWORD src1_sel:BYTE_0
	v_bfe_u32 v0, v0, 8, 8
	v_mul_f64 v[180:181], v[50:51], s[2:3]
	v_fmac_f64_e32 v[4:5], v[2:3], v[10:11]
	v_mul_f64 v[2:3], v[2:3], v[14:15]
	v_lshl_or_b32 v0, v0, 4, v73
	global_load_dwordx4 v[14:17], v1, s[12:13]
	global_load_dwordx4 v[18:21], v0, s[12:13]
	v_mul_f64 v[178:179], v[38:39], s[18:19]
	v_fma_f64 v[60:61], s[46:47], v[144:145], v[180:181]
	v_mul_f64 v[192:193], v[56:57], s[16:17]
	v_mul_f64 v[176:177], v[36:37], s[30:31]
	v_fma_f64 v[58:59], s[44:45], v[134:135], v[178:179]
	v_add_f64 v[60:61], v[8:9], v[60:61]
	v_mul_f64 v[190:191], v[54:55], s[28:29]
	v_fma_f64 v[64:65], s[2:3], v[166:167], v[192:193]
	v_mul_f64 v[174:175], v[34:35], s[22:23]
	v_fma_f64 v[44:45], s[48:49], v[130:131], v[176:177]
	v_add_f64 v[58:59], v[58:59], v[60:61]
	v_mul_f64 v[188:189], v[52:53], s[38:39]
	v_fma_f64 v[62:63], s[18:19], v[162:163], v[190:191]
	v_add_f64 v[64:65], v[6:7], v[64:65]
	;; [unrolled: 3-line block ×4, first 2 shown]
	v_fma_f64 v[2:3], v[12:13], v[10:11], -v[2:3]
	v_mul_f64 v[170:171], v[30:31], s[0:1]
	v_fma_f64 v[12:13], s[20:21], v[124:125], v[172:173]
	v_add_f64 v[42:43], v[42:43], v[44:45]
	v_mul_f64 v[184:185], v[46:47], s[40:41]
	v_fma_f64 v[58:59], s[22:23], v[154:155], v[186:187]
	v_add_f64 v[60:61], v[60:61], v[62:63]
	v_add_u32_e32 v0, 0x75, v149
	v_fma_f64 v[10:11], s[8:9], v[120:121], v[170:171]
	v_add_f64 v[12:13], v[12:13], v[42:43]
	v_fma_f64 v[44:45], s[14:15], v[150:151], v[184:185]
	v_add_f64 v[58:59], v[58:59], v[60:61]
	v_mul_lo_u32 v0, v72, v0
	v_add_f64 v[10:11], v[10:11], v[12:13]
	s_waitcnt vmcnt(2)
	v_mul_f64 v[12:13], v[24:25], v[28:29]
	v_add_f64 v[44:45], v[44:45], v[58:59]
	v_mul_f64 v[58:59], v[22:23], v[28:29]
	v_lshlrev_b32_sdwa v1, v71, v0 dst_sel:DWORD dst_unused:UNUSED_PAD src0_sel:DWORD src1_sel:BYTE_0
	v_bfe_u32 v0, v0, 8, 8
	v_fma_f64 v[42:43], v[22:23], v[26:27], -v[12:13]
	v_fmac_f64_e32 v[58:59], v[24:25], v[26:27]
	v_lshl_or_b32 v0, v0, 4, v73
	global_load_dwordx4 v[22:25], v1, s[12:13]
	global_load_dwordx4 v[26:29], v0, s[12:13]
	v_mul_f64 v[182:183], v[40:41], s[36:37]
	v_fma_f64 v[12:13], s[0:1], v[146:147], v[182:183]
	v_mul_f64 v[204:205], v[50:51], s[14:15]
	v_add_f64 v[44:45], v[12:13], v[44:45]
	v_mul_f64 v[202:203], v[38:39], s[30:31]
	v_fma_f64 v[64:65], s[40:41], v[144:145], v[204:205]
	v_mul_f64 v[12:13], v[44:45], v[58:59]
	v_mul_f64 v[200:201], v[36:37], s[18:19]
	v_fma_f64 v[62:63], s[48:49], v[134:135], v[202:203]
	v_add_f64 v[64:65], v[8:9], v[64:65]
	v_add_u32_e32 v0, 0x68, v149
	v_fmac_f64_e32 v[12:13], v[10:11], v[42:43]
	v_mul_f64 v[10:11], v[10:11], v[58:59]
	v_mul_f64 v[198:199], v[34:35], s[0:1]
	v_fma_f64 v[60:61], s[28:29], v[130:131], v[200:201]
	v_add_f64 v[62:63], v[62:63], v[64:65]
	v_mul_lo_u32 v0, v72, v0
	v_fma_f64 v[10:11], v[44:45], v[42:43], -v[10:11]
	v_mul_f64 v[196:197], v[32:33], s[2:3]
	v_fma_f64 v[44:45], s[8:9], v[126:127], v[198:199]
	v_add_f64 v[60:61], v[60:61], v[62:63]
	v_lshlrev_b32_sdwa v1, v71, v0 dst_sel:DWORD dst_unused:UNUSED_PAD src0_sel:DWORD src1_sel:BYTE_0
	v_bfe_u32 v0, v0, 8, 8
	v_fma_f64 v[42:43], s[46:47], v[124:125], v[196:197]
	v_add_f64 v[44:45], v[44:45], v[60:61]
	v_lshl_or_b32 v0, v0, 4, v73
	v_add_f64 v[60:61], v[42:43], v[44:45]
	global_load_dwordx4 v[42:45], v1, s[12:13]
	global_load_dwordx4 v[66:69], v0, s[12:13]
	v_add_u32_e32 v0, 0x5b, v149
	v_mul_lo_u32 v0, v72, v0
	v_lshlrev_b32_sdwa v1, v71, v0 dst_sel:DWORD dst_unused:UNUSED_PAD src0_sel:DWORD src1_sel:BYTE_0
	v_bfe_u32 v0, v0, 8, 8
	v_lshl_or_b32 v0, v0, 4, v73
	global_load_dwordx4 v[238:241], v1, s[12:13]
	global_load_dwordx4 v[242:245], v0, s[12:13]
	v_mul_f64 v[216:217], v[56:57], s[20:21]
	v_mul_f64 v[214:215], v[54:55], s[38:39]
	v_fma_f64 v[224:225], s[14:15], v[166:167], v[216:217]
	v_mul_f64 v[212:213], v[52:53], s[44:45]
	v_fma_f64 v[222:223], s[30:31], v[162:163], v[214:215]
	v_add_f64 v[224:225], v[6:7], v[224:225]
	v_mul_f64 v[194:195], v[30:31], s[22:23]
	v_mul_f64 v[210:211], v[48:49], s[36:37]
	v_fma_f64 v[220:221], s[18:19], v[158:159], v[212:213]
	v_add_f64 v[222:223], v[222:223], v[224:225]
	v_fma_f64 v[58:59], s[42:43], v[120:121], v[194:195]
	v_mul_f64 v[208:209], v[46:47], s[16:17]
	v_fma_f64 v[218:219], s[0:1], v[154:155], v[210:211]
	v_add_f64 v[220:221], v[220:221], v[222:223]
	v_add_f64 v[58:59], v[58:59], v[60:61]
	s_waitcnt vmcnt(6)
	v_mul_f64 v[60:61], v[16:17], v[20:21]
	v_mul_f64 v[206:207], v[40:41], s[34:35]
	v_fma_f64 v[64:65], s[2:3], v[150:151], v[208:209]
	v_add_f64 v[218:219], v[218:219], v[220:221]
	v_mul_f64 v[236:237], v[50:51], s[18:19]
	v_fma_f64 v[60:61], v[14:15], v[18:19], -v[60:61]
	v_fma_f64 v[62:63], s[22:23], v[146:147], v[206:207]
	v_add_f64 v[64:65], v[64:65], v[218:219]
	v_mul_f64 v[14:15], v[14:15], v[20:21]
	v_mul_f64 v[234:235], v[38:39], s[22:23]
	v_fma_f64 v[220:221], s[44:45], v[144:145], v[236:237]
	v_add_f64 v[62:63], v[62:63], v[64:65]
	v_fmac_f64_e32 v[14:15], v[16:17], v[18:19]
	v_mul_f64 v[232:233], v[36:37], s[0:1]
	v_fma_f64 v[218:219], s[34:35], v[134:135], v[234:235]
	v_add_f64 v[220:221], v[8:9], v[220:221]
	v_mul_f64 v[16:17], v[62:63], v[14:15]
	v_mul_f64 v[14:15], v[58:59], v[14:15]
	;; [unrolled: 1-line block ×3, first 2 shown]
	v_fma_f64 v[64:65], s[8:9], v[130:131], v[232:233]
	v_add_f64 v[218:219], v[218:219], v[220:221]
	v_fmac_f64_e32 v[16:17], v[58:59], v[60:61]
	v_fma_f64 v[14:15], v[62:63], v[60:61], -v[14:15]
	v_mul_f64 v[60:61], v[32:33], s[30:31]
	v_fma_f64 v[62:63], s[40:41], v[126:127], v[230:231]
	v_add_f64 v[64:65], v[64:65], v[218:219]
	v_mul_f64 v[58:59], v[30:31], s[2:3]
	v_fma_f64 v[20:21], s[38:39], v[124:125], v[60:61]
	v_add_f64 v[62:63], v[62:63], v[64:65]
	v_fma_f64 v[18:19], s[16:17], v[120:121], v[58:59]
	v_add_f64 v[20:21], v[20:21], v[62:63]
	v_add_f64 v[18:19], v[18:19], v[20:21]
	s_waitcnt vmcnt(4)
	v_mul_f64 v[20:21], v[24:25], v[28:29]
	v_fma_f64 v[62:63], v[22:23], v[26:27], -v[20:21]
	v_mul_f64 v[22:23], v[22:23], v[28:29]
	v_mul_f64 v[228:229], v[56:57], s[28:29]
	v_fmac_f64_e32 v[22:23], v[24:25], v[26:27]
	v_mul_f64 v[226:227], v[54:55], s[42:43]
	v_fma_f64 v[26:27], s[18:19], v[166:167], v[228:229]
	v_mul_f64 v[224:225], v[52:53], s[36:37]
	v_fma_f64 v[24:25], s[22:23], v[162:163], v[226:227]
	v_add_f64 v[26:27], v[6:7], v[26:27]
	v_mul_f64 v[222:223], v[48:49], s[20:21]
	v_add_f64 v[24:25], v[24:25], v[26:27]
	v_fma_f64 v[26:27], s[0:1], v[158:159], v[224:225]
	v_mul_f64 v[220:221], v[46:47], s[48:49]
	v_add_f64 v[24:25], v[26:27], v[24:25]
	v_fma_f64 v[26:27], s[14:15], v[154:155], v[222:223]
	;; [unrolled: 3-line block ×3, first 2 shown]
	v_fma_f64 v[20:21], s[2:3], v[146:147], v[218:219]
	v_add_f64 v[24:25], v[26:27], v[24:25]
	v_add_f64 v[24:25], v[20:21], v[24:25]
	v_mul_f64 v[20:21], v[24:25], v[22:23]
	v_fmac_f64_e32 v[20:21], v[18:19], v[62:63]
	v_mul_f64 v[18:19], v[18:19], v[22:23]
	v_mul_f64 v[248:249], v[50:51], s[22:23]
	s_waitcnt vmcnt(2)
	v_mul_f64 v[22:23], v[44:45], v[68:69]
	v_fma_f64 v[26:27], v[42:43], v[66:67], -v[22:23]
	v_mul_f64 v[22:23], v[42:43], v[68:69]
	v_fma_f64 v[18:19], v[24:25], v[62:63], -v[18:19]
	v_fmac_f64_e32 v[22:23], v[44:45], v[66:67]
	v_mul_f64 v[246:247], v[38:39], s[14:15]
	s_waitcnt vmcnt(0)
	v_mul_f64 v[24:25], v[240:241], v[244:245]
	v_fma_f64 v[44:45], s[42:43], v[144:145], v[248:249]
	v_mul_f64 v[68:69], v[36:37], s[2:3]
	v_fma_f64 v[42:43], v[238:239], v[242:243], -v[24:25]
	v_fma_f64 v[24:25], s[20:21], v[134:135], v[246:247]
	v_add_f64 v[44:45], v[8:9], v[44:45]
	v_mul_f64 v[66:67], v[34:35], s[30:31]
	v_add_f64 v[24:25], v[24:25], v[44:45]
	v_fma_f64 v[44:45], s[46:47], v[130:131], v[68:69]
	v_mul_f64 v[64:65], v[32:33], s[0:1]
	v_add_f64 v[24:25], v[44:45], v[24:25]
	v_fma_f64 v[44:45], s[38:39], v[126:127], v[66:67]
	;; [unrolled: 3-line block ×3, first 2 shown]
	v_add_f64 v[24:25], v[44:45], v[24:25]
	v_fma_f64 v[44:45], s[44:45], v[120:121], v[62:63]
	v_mul_f64 v[250:251], v[56:57], s[34:35]
	v_mul_f64 v[28:29], v[238:239], v[244:245]
	v_add_f64 v[44:45], v[44:45], v[24:25]
	v_fma_f64 v[24:25], s[22:23], v[166:167], v[250:251]
	v_mul_f64 v[252:253], v[54:55], s[40:41]
	v_fmac_f64_e32 v[28:29], v[240:241], v[242:243]
	v_add_f64 v[24:25], v[6:7], v[24:25]
	v_fma_f64 v[238:239], s[14:15], v[162:163], v[252:253]
	v_mul_f64 v[240:241], v[52:53], s[16:17]
	v_add_f64 v[24:25], v[238:239], v[24:25]
	v_fma_f64 v[238:239], s[2:3], v[158:159], v[240:241]
	v_add_f64 v[24:25], v[238:239], v[24:25]
	v_mul_f64 v[238:239], v[48:49], s[48:49]
	v_fma_f64 v[242:243], s[30:31], v[154:155], v[238:239]
	v_add_f64 v[24:25], v[242:243], v[24:25]
	v_mul_f64 v[242:243], v[46:47], s[36:37]
	;; [unrolled: 3-line block ×4, first 2 shown]
	v_mul_f64 v[24:25], v[254:255], v[22:23]
	v_fma_f64 v[22:23], v[254:255], v[26:27], -v[0:1]
	v_mul_f64 v[0:1], v[38:39], s[0:1]
	v_mul_f64 v[38:39], v[50:51], s[30:31]
	v_fmac_f64_e32 v[24:25], v[44:45], v[26:27]
	v_fma_f64 v[26:27], s[48:49], v[144:145], v[38:39]
	v_add_f64 v[26:27], v[8:9], v[26:27]
	v_fma_f64 v[44:45], s[8:9], v[134:135], v[0:1]
	v_mul_f64 v[36:37], v[36:37], s[22:23]
	v_add_f64 v[26:27], v[44:45], v[26:27]
	v_fma_f64 v[44:45], s[42:43], v[130:131], v[36:37]
	v_mul_f64 v[34:35], v[34:35], s[2:3]
	;; [unrolled: 3-line block ×3, first 2 shown]
	v_add_f64 v[26:27], v[44:45], v[26:27]
	v_fma_f64 v[44:45], s[44:45], v[124:125], v[32:33]
	v_add_f64 v[26:27], v[44:45], v[26:27]
	v_mul_f64 v[44:45], v[30:31], s[14:15]
	v_fma_f64 v[30:31], s[20:21], v[120:121], v[44:45]
	v_mul_f64 v[50:51], v[54:55], s[36:37]
	v_mul_f64 v[54:55], v[56:57], s[38:39]
	v_add_f64 v[30:31], v[30:31], v[26:27]
	v_fma_f64 v[26:27], s[30:31], v[166:167], v[54:55]
	v_add_f64 v[26:27], v[6:7], v[26:27]
	v_fma_f64 v[56:57], s[0:1], v[162:163], v[50:51]
	v_mul_f64 v[52:53], v[52:53], s[34:35]
	v_add_f64 v[26:27], v[56:57], v[26:27]
	v_fma_f64 v[56:57], s[22:23], v[158:159], v[52:53]
	v_mul_f64 v[48:49], v[48:49], s[46:47]
	v_add_f64 v[26:27], v[56:57], v[26:27]
	v_fma_f64 v[56:57], s[2:3], v[154:155], v[48:49]
	v_add_f64 v[26:27], v[56:57], v[26:27]
	v_mul_f64 v[56:57], v[46:47], s[28:29]
	v_fma_f64 v[46:47], s[18:19], v[150:151], v[56:57]
	v_mul_f64 v[254:255], v[40:41], s[40:41]
	v_add_f64 v[26:27], v[46:47], v[26:27]
	v_fma_f64 v[40:41], s[14:15], v[146:147], v[254:255]
	v_add_f64 v[26:27], v[40:41], v[26:27]
	v_mul_f64 v[40:41], v[30:31], v[28:29]
	v_mul_f64 v[28:29], v[26:27], v[28:29]
	v_fmac_f64_e32 v[38:39], s[38:39], v[144:145]
	v_fmac_f64_e32 v[28:29], v[30:31], v[42:43]
	;; [unrolled: 1-line block ×3, first 2 shown]
	v_add_f64 v[30:31], v[8:9], v[38:39]
	v_add_f64 v[0:1], v[0:1], v[30:31]
	v_fmac_f64_e32 v[36:37], s[34:35], v[130:131]
	v_add_u32_e32 v30, 0x4e, v149
	v_add_f64 v[0:1], v[36:37], v[0:1]
	v_fmac_f64_e32 v[34:35], s[46:47], v[126:127]
	v_mul_lo_u32 v30, v72, v30
	v_add_f64 v[0:1], v[34:35], v[0:1]
	v_fmac_f64_e32 v[32:33], s[28:29], v[124:125]
	v_lshlrev_b32_sdwa v31, v71, v30 dst_sel:DWORD dst_unused:UNUSED_PAD src0_sel:DWORD src1_sel:BYTE_0
	v_bfe_u32 v30, v30, 8, 8
	v_fma_f64 v[26:27], v[26:27], v[42:43], -v[40:41]
	v_add_f64 v[0:1], v[32:33], v[0:1]
	v_lshl_or_b32 v34, v30, 4, v73
	global_load_dwordx4 v[30:33], v31, s[12:13]
	s_nop 0
	global_load_dwordx4 v[38:41], v34, s[12:13]
	v_fma_f64 v[36:37], v[166:167], s[30:31], -v[54:55]
	v_fma_f64 v[34:35], v[162:163], s[0:1], -v[50:51]
	v_add_f64 v[36:37], v[6:7], v[36:37]
	v_add_f64 v[34:35], v[34:35], v[36:37]
	v_fma_f64 v[42:43], v[158:159], s[22:23], -v[52:53]
	v_fma_f64 v[36:37], v[154:155], s[2:3], -v[48:49]
	v_add_f64 v[34:35], v[42:43], v[34:35]
	v_add_f64 v[42:43], v[36:37], v[34:35]
	v_add_u32_e32 v34, 0x41, v149
	v_mul_lo_u32 v34, v72, v34
	v_fmac_f64_e32 v[44:45], s[40:41], v[120:121]
	v_lshlrev_b32_sdwa v35, v71, v34 dst_sel:DWORD dst_unused:UNUSED_PAD src0_sel:DWORD src1_sel:BYTE_0
	v_bfe_u32 v34, v34, 8, 8
	v_add_f64 v[0:1], v[44:45], v[0:1]
	v_lshl_or_b32 v44, v34, 4, v73
	global_load_dwordx4 v[34:37], v35, s[12:13]
	s_nop 0
	global_load_dwordx4 v[46:49], v44, s[12:13]
	v_fma_f64 v[44:45], v[150:151], s[18:19], -v[56:57]
	v_add_f64 v[42:43], v[44:45], v[42:43]
	v_fmac_f64_e32 v[248:249], s[34:35], v[144:145]
	v_fmac_f64_e32 v[246:247], s[40:41], v[134:135]
	;; [unrolled: 1-line block ×4, first 2 shown]
	v_add_u32_e32 v54, 39, v149
	v_fmac_f64_e32 v[64:65], s[36:37], v[124:125]
	v_mul_lo_u32 v54, v72, v54
	v_fmac_f64_e32 v[62:63], s[28:29], v[120:121]
	v_lshlrev_b32_sdwa v55, v71, v54 dst_sel:DWORD dst_unused:UNUSED_PAD src0_sel:DWORD src1_sel:BYTE_0
	v_bfe_u32 v54, v54, 8, 8
	v_lshl_or_b32 v54, v54, 4, v73
	v_fma_f64 v[52:53], v[166:167], s[22:23], -v[250:251]
	v_add_f64 v[52:53], v[6:7], v[52:53]
	v_fma_f64 v[238:239], v[154:155], s[30:31], -v[238:239]
	v_fma_f64 v[56:57], v[150:151], s[0:1], -v[242:243]
	v_fmac_f64_e32 v[236:237], s[28:29], v[144:145]
	v_fmac_f64_e32 v[234:235], s[42:43], v[134:135]
	;; [unrolled: 1-line block ×6, first 2 shown]
	v_fma_f64 v[222:223], v[154:155], s[14:15], -v[222:223]
	v_fma_f64 v[220:221], v[150:151], s[30:31], -v[220:221]
	v_fma_f64 v[218:219], v[146:147], s[2:3], -v[218:219]
	v_fmac_f64_e32 v[204:205], s[20:21], v[144:145]
	v_fmac_f64_e32 v[202:203], s[38:39], v[134:135]
	;; [unrolled: 1-line block ×18, first 2 shown]
	s_waitcnt vmcnt(2)
	v_mul_f64 v[44:45], v[32:33], v[40:41]
	v_fma_f64 v[50:51], v[30:31], v[38:39], -v[44:45]
	v_mul_f64 v[30:31], v[30:31], v[40:41]
	v_fma_f64 v[44:45], v[146:147], s[14:15], -v[254:255]
	v_fmac_f64_e32 v[30:31], v[32:33], v[38:39]
	v_add_u32_e32 v38, 52, v149
	v_add_f64 v[42:43], v[44:45], v[42:43]
	v_mul_lo_u32 v38, v72, v38
	v_mul_f64 v[32:33], v[42:43], v[30:31]
	v_mul_f64 v[30:31], v[0:1], v[30:31]
	v_lshlrev_b32_sdwa v39, v71, v38 dst_sel:DWORD dst_unused:UNUSED_PAD src0_sel:DWORD src1_sel:BYTE_0
	v_bfe_u32 v38, v38, 8, 8
	v_fma_f64 v[30:31], v[42:43], v[50:51], -v[30:31]
	v_lshl_or_b32 v42, v38, 4, v73
	global_load_dwordx4 v[38:41], v39, s[12:13]
	s_nop 0
	global_load_dwordx4 v[42:45], v42, s[12:13]
	v_fmac_f64_e32 v[32:33], v[0:1], v[50:51]
	v_add_f64 v[0:1], v[8:9], v[248:249]
	v_add_f64 v[0:1], v[246:247], v[0:1]
	;; [unrolled: 1-line block ×6, first 2 shown]
	global_load_dwordx4 v[62:65], v55, s[12:13]
	global_load_dwordx4 v[66:69], v54, s[12:13]
	v_fma_f64 v[50:51], v[162:163], s[14:15], -v[252:253]
	v_add_f64 v[50:51], v[50:51], v[52:53]
	v_fma_f64 v[52:53], v[158:159], s[2:3], -v[240:241]
	v_add_f64 v[50:51], v[52:53], v[50:51]
	s_waitcnt vmcnt(4)
	v_mul_f64 v[52:53], v[36:37], v[48:49]
	v_add_f64 v[50:51], v[238:239], v[50:51]
	v_fma_f64 v[52:53], v[34:35], v[46:47], -v[52:53]
	v_fma_f64 v[54:55], v[146:147], s[18:19], -v[244:245]
	v_add_f64 v[50:51], v[56:57], v[50:51]
	v_mul_f64 v[34:35], v[34:35], v[48:49]
	v_add_f64 v[50:51], v[54:55], v[50:51]
	v_fmac_f64_e32 v[34:35], v[36:37], v[46:47]
	v_mul_f64 v[36:37], v[50:51], v[34:35]
	v_fmac_f64_e32 v[36:37], v[0:1], v[52:53]
	v_mul_f64 v[0:1], v[0:1], v[34:35]
	v_fma_f64 v[34:35], v[50:51], v[52:53], -v[0:1]
	v_add_f64 v[0:1], v[8:9], v[236:237]
	v_add_f64 v[0:1], v[234:235], v[0:1]
	;; [unrolled: 1-line block ×3, first 2 shown]
	v_add_u32_e32 v46, 26, v149
	v_add_f64 v[0:1], v[230:231], v[0:1]
	v_mul_lo_u32 v46, v72, v46
	v_lshlrev_b32_sdwa v47, v71, v46 dst_sel:DWORD dst_unused:UNUSED_PAD src0_sel:DWORD src1_sel:BYTE_0
	v_bfe_u32 v46, v46, 8, 8
	v_add_f64 v[0:1], v[60:61], v[0:1]
	v_lshl_or_b32 v50, v46, 4, v73
	v_add_f64 v[0:1], v[58:59], v[0:1]
	v_fma_f64 v[58:59], v[166:167], s[18:19], -v[228:229]
	global_load_dwordx4 v[46:49], v47, s[12:13]
	s_nop 0
	global_load_dwordx4 v[50:53], v50, s[12:13]
	v_fma_f64 v[56:57], v[162:163], s[22:23], -v[226:227]
	v_add_f64 v[58:59], v[6:7], v[58:59]
	v_add_f64 v[56:57], v[56:57], v[58:59]
	s_waitcnt vmcnt(4)
	v_mul_f64 v[54:55], v[40:41], v[44:45]
	v_fma_f64 v[230:231], v[38:39], v[42:43], -v[54:55]
	v_fma_f64 v[54:55], v[158:159], s[0:1], -v[224:225]
	v_add_f64 v[224:225], v[54:55], v[56:57]
	v_add_u32_e32 v54, 13, v149
	v_mul_lo_u32 v54, v72, v54
	v_lshlrev_b32_sdwa v55, v71, v54 dst_sel:DWORD dst_unused:UNUSED_PAD src0_sel:DWORD src1_sel:BYTE_0
	v_bfe_u32 v54, v54, 8, 8
	v_lshl_or_b32 v58, v54, 4, v73
	global_load_dwordx4 v[54:57], v55, s[12:13]
	s_nop 0
	global_load_dwordx4 v[58:61], v58, s[12:13]
	v_add_f64 v[222:223], v[222:223], v[224:225]
	v_add_f64 v[220:221], v[220:221], v[222:223]
	v_mul_f64 v[38:39], v[38:39], v[44:45]
	v_add_f64 v[218:219], v[218:219], v[220:221]
	v_fmac_f64_e32 v[38:39], v[40:41], v[42:43]
	v_mul_f64 v[40:41], v[218:219], v[38:39]
	v_fmac_f64_e32 v[40:41], v[0:1], v[230:231]
	v_mul_f64 v[0:1], v[0:1], v[38:39]
	v_fma_f64 v[38:39], v[218:219], v[230:231], -v[0:1]
	v_add_f64 v[0:1], v[8:9], v[204:205]
	v_add_f64 v[0:1], v[202:203], v[0:1]
	v_fma_f64 v[202:203], v[166:167], s[14:15], -v[216:217]
	v_add_f64 v[0:1], v[200:201], v[0:1]
	v_fma_f64 v[200:201], v[162:163], s[30:31], -v[214:215]
	v_add_f64 v[202:203], v[6:7], v[202:203]
	v_add_f64 v[0:1], v[198:199], v[0:1]
	v_fma_f64 v[198:199], v[158:159], s[18:19], -v[212:213]
	v_add_f64 v[200:201], v[200:201], v[202:203]
	;; [unrolled: 3-line block ×3, first 2 shown]
	v_add_f64 v[42:43], v[194:195], v[0:1]
	s_waitcnt vmcnt(4)
	v_mul_f64 v[0:1], v[64:65], v[68:69]
	v_fma_f64 v[44:45], v[150:151], s[2:3], -v[208:209]
	v_add_f64 v[196:197], v[196:197], v[198:199]
	v_fma_f64 v[194:195], v[62:63], v[66:67], -v[0:1]
	v_fma_f64 v[0:1], v[146:147], s[22:23], -v[206:207]
	v_add_f64 v[44:45], v[44:45], v[196:197]
	v_add_f64 v[196:197], v[0:1], v[44:45]
	v_mul_lo_u32 v0, v72, v149
	v_mul_f64 v[62:63], v[62:63], v[68:69]
	v_lshlrev_b32_sdwa v1, v71, v0 dst_sel:DWORD dst_unused:UNUSED_PAD src0_sel:DWORD src1_sel:BYTE_0
	v_bfe_u32 v0, v0, 8, 8
	v_fmac_f64_e32 v[62:63], v[64:65], v[66:67]
	v_lshl_or_b32 v0, v0, 4, v73
	global_load_dwordx4 v[64:67], v1, s[12:13]
	global_load_dwordx4 v[198:201], v0, s[12:13]
	v_mul_f64 v[44:45], v[196:197], v[62:63]
	v_mul_f64 v[0:1], v[42:43], v[62:63]
	v_fmac_f64_e32 v[44:45], v[42:43], v[194:195]
	v_fma_f64 v[42:43], v[196:197], v[194:195], -v[0:1]
	v_add_f64 v[0:1], v[8:9], v[180:181]
	v_add_f64 v[0:1], v[178:179], v[0:1]
	;; [unrolled: 1-line block ×3, first 2 shown]
	v_fma_f64 v[176:177], v[166:167], s[2:3], -v[192:193]
	v_add_f64 v[0:1], v[174:175], v[0:1]
	v_fma_f64 v[174:175], v[162:163], s[18:19], -v[190:191]
	v_add_f64 v[176:177], v[6:7], v[176:177]
	v_add_f64 v[0:1], v[172:173], v[0:1]
	v_fma_f64 v[172:173], v[158:159], s[30:31], -v[188:189]
	v_add_f64 v[174:175], v[174:175], v[176:177]
	;; [unrolled: 3-line block ×3, first 2 shown]
	s_waitcnt vmcnt(4)
	v_mul_f64 v[62:63], v[48:49], v[52:53]
	v_fma_f64 v[72:73], v[150:151], s[14:15], -v[184:185]
	v_add_f64 v[170:171], v[170:171], v[172:173]
	v_fma_f64 v[62:63], v[46:47], v[50:51], -v[62:63]
	v_fma_f64 v[68:69], v[146:147], s[0:1], -v[182:183]
	v_add_f64 v[72:73], v[72:73], v[170:171]
	v_mul_f64 v[46:47], v[46:47], v[52:53]
	v_add_f64 v[68:69], v[68:69], v[72:73]
	v_fmac_f64_e32 v[46:47], v[48:49], v[50:51]
	v_mul_f64 v[48:49], v[68:69], v[46:47]
	v_fmac_f64_e32 v[48:49], v[0:1], v[62:63]
	v_mul_f64 v[0:1], v[0:1], v[46:47]
	v_fma_f64 v[46:47], v[68:69], v[62:63], -v[0:1]
	v_fma_f64 v[68:69], v[166:167], s[0:1], -v[168:169]
	;; [unrolled: 1-line block ×3, first 2 shown]
	v_add_f64 v[68:69], v[6:7], v[68:69]
	v_add_f64 v[50:51], v[8:9], v[142:143]
	;; [unrolled: 1-line block ×4, first 2 shown]
	v_accvgpr_read_b32 v53, a1
	v_add_f64 v[50:51], v[128:129], v[50:51]
	v_accvgpr_read_b32 v52, a0
	v_add_f64 v[50:51], v[122:123], v[50:51]
	v_fma_f64 v[52:53], v[146:147], s[30:31], -v[52:53]
	v_add_f64 v[50:51], v[118:119], v[50:51]
	v_add_f64 v[50:51], v[114:115], v[50:51]
	s_waitcnt vmcnt(2)
	v_mul_f64 v[0:1], v[56:57], v[60:61]
	v_fma_f64 v[0:1], v[54:55], v[58:59], -v[0:1]
	v_mul_f64 v[54:55], v[54:55], v[60:61]
	v_fma_f64 v[60:61], v[158:159], s[14:15], -v[160:161]
	v_fmac_f64_e32 v[54:55], v[56:57], v[58:59]
	v_fma_f64 v[58:59], v[154:155], s[18:19], -v[156:157]
	v_add_f64 v[60:61], v[60:61], v[62:63]
	v_fma_f64 v[56:57], v[150:151], s[22:23], -v[152:153]
	v_add_f64 v[58:59], v[58:59], v[60:61]
	v_add_f64 v[56:57], v[56:57], v[58:59]
	;; [unrolled: 1-line block ×3, first 2 shown]
	v_mul_f64 v[52:53], v[54:55], v[56:57]
	v_fmac_f64_e32 v[52:53], v[0:1], v[50:51]
	v_mul_f64 v[50:51], v[54:55], v[50:51]
	v_add_f64 v[6:7], v[6:7], v[138:139]
	v_fma_f64 v[50:51], v[0:1], v[56:57], -v[50:51]
	v_add_f64 v[0:1], v[8:9], v[116:117]
	v_add_f64 v[6:7], v[6:7], v[106:107]
	;; [unrolled: 1-line block ×20, first 2 shown]
	s_waitcnt vmcnt(0)
	v_mul_f64 v[56:57], v[64:65], v[200:201]
	v_add_f64 v[0:1], v[0:1], v[112:113]
	v_mul_f64 v[8:9], v[66:67], v[200:201]
	v_add_f64 v[6:7], v[6:7], v[136:137]
	v_fmac_f64_e32 v[56:57], v[66:67], v[198:199]
	v_add_f64 v[0:1], v[0:1], v[140:141]
	v_fma_f64 v[54:55], v[64:65], v[198:199], -v[8:9]
	v_mul_f64 v[8:9], v[6:7], v[56:57]
	v_fmac_f64_e32 v[8:9], v[0:1], v[54:55]
	v_mul_f64 v[0:1], v[0:1], v[56:57]
	v_fma_f64 v[6:7], v[6:7], v[54:55], -v[0:1]
	v_mad_u64_u32 v[0:1], s[0:1], s6, v70, 0
	v_mov_b32_e32 v54, v1
	v_mad_u64_u32 v[54:55], s[0:1], s7, v70, v[54:55]
	s_movk_i32 s0, 0x1a5
	v_mov_b32_e32 v1, v54
	v_mul_u32_u24_sdwa v54, v148, s0 dst_sel:DWORD dst_unused:UNUSED_PAD src0_sel:WORD_0 src1_sel:DWORD
	s_movk_i32 s0, 0xa9
	v_mul_lo_u16_sdwa v54, v54, s0 dst_sel:DWORD dst_unused:UNUSED_PAD src0_sel:WORD_1 src1_sel:DWORD
	v_add_u32_e32 v58, v149, v54
	v_mad_u64_u32 v[54:55], s[0:1], s4, v58, 0
	v_mov_b32_e32 v56, v55
	v_mad_u64_u32 v[56:57], s[0:1], s5, v58, v[56:57]
	s_lshl_b64 s[0:1], s[26:27], 4
	s_add_u32 s2, s10, s0
	s_addc_u32 s3, s11, s1
	s_lshl_b64 s[0:1], s[24:25], 4
	s_add_u32 s0, s2, s0
	s_addc_u32 s1, s3, s1
	v_mov_b32_e32 v55, v56
	v_lshl_add_u64 v[0:1], v[0:1], 4, s[0:1]
	v_lshl_add_u64 v[54:55], v[54:55], 4, v[0:1]
	global_store_dwordx4 v[54:55], v[6:9], off
	s_nop 1
	v_add_u32_e32 v9, 13, v58
	v_mad_u64_u32 v[6:7], s[0:1], s4, v9, 0
	v_mov_b32_e32 v8, v7
	v_mad_u64_u32 v[8:9], s[0:1], s5, v9, v[8:9]
	v_mov_b32_e32 v7, v8
	v_lshl_add_u64 v[6:7], v[6:7], 4, v[0:1]
	v_add_u32_e32 v9, 26, v58
	global_store_dwordx4 v[6:7], v[50:53], off
	v_mad_u64_u32 v[6:7], s[0:1], s4, v9, 0
	v_mov_b32_e32 v8, v7
	v_mad_u64_u32 v[8:9], s[0:1], s5, v9, v[8:9]
	v_mov_b32_e32 v7, v8
	v_lshl_add_u64 v[6:7], v[6:7], 4, v[0:1]
	v_add_u32_e32 v9, 39, v58
	global_store_dwordx4 v[6:7], v[46:49], off
	;; [unrolled: 7-line block ×11, first 2 shown]
	v_mad_u64_u32 v[6:7], s[0:1], s4, v9, 0
	v_mov_b32_e32 v8, v7
	v_mad_u64_u32 v[8:9], s[0:1], s5, v9, v[8:9]
	v_mov_b32_e32 v7, v8
	v_lshl_add_u64 v[0:1], v[6:7], 4, v[0:1]
	global_store_dwordx4 v[0:1], v[2:5], off
.LBB0_40:
	s_endpgm
	.section	.rodata,"a",@progbits
	.p2align	6, 0x0
	.amdhsa_kernel fft_rtc_fwd_len169_factors_13_13_wgs_156_tpt_13_dp_op_CI_CI_sbcc_twdbase8_2step_dirReg_intrinsicRead
		.amdhsa_group_segment_fixed_size 0
		.amdhsa_private_segment_fixed_size 0
		.amdhsa_kernarg_size 112
		.amdhsa_user_sgpr_count 2
		.amdhsa_user_sgpr_dispatch_ptr 0
		.amdhsa_user_sgpr_queue_ptr 0
		.amdhsa_user_sgpr_kernarg_segment_ptr 1
		.amdhsa_user_sgpr_dispatch_id 0
		.amdhsa_user_sgpr_kernarg_preload_length 0
		.amdhsa_user_sgpr_kernarg_preload_offset 0
		.amdhsa_user_sgpr_private_segment_size 0
		.amdhsa_uses_dynamic_stack 0
		.amdhsa_enable_private_segment 0
		.amdhsa_system_sgpr_workgroup_id_x 1
		.amdhsa_system_sgpr_workgroup_id_y 0
		.amdhsa_system_sgpr_workgroup_id_z 0
		.amdhsa_system_sgpr_workgroup_info 0
		.amdhsa_system_vgpr_workitem_id 0
		.amdhsa_next_free_vgpr 258
		.amdhsa_next_free_sgpr 58
		.amdhsa_accum_offset 256
		.amdhsa_reserve_vcc 1
		.amdhsa_float_round_mode_32 0
		.amdhsa_float_round_mode_16_64 0
		.amdhsa_float_denorm_mode_32 3
		.amdhsa_float_denorm_mode_16_64 3
		.amdhsa_dx10_clamp 1
		.amdhsa_ieee_mode 1
		.amdhsa_fp16_overflow 0
		.amdhsa_tg_split 0
		.amdhsa_exception_fp_ieee_invalid_op 0
		.amdhsa_exception_fp_denorm_src 0
		.amdhsa_exception_fp_ieee_div_zero 0
		.amdhsa_exception_fp_ieee_overflow 0
		.amdhsa_exception_fp_ieee_underflow 0
		.amdhsa_exception_fp_ieee_inexact 0
		.amdhsa_exception_int_div_zero 0
	.end_amdhsa_kernel
	.text
.Lfunc_end0:
	.size	fft_rtc_fwd_len169_factors_13_13_wgs_156_tpt_13_dp_op_CI_CI_sbcc_twdbase8_2step_dirReg_intrinsicRead, .Lfunc_end0-fft_rtc_fwd_len169_factors_13_13_wgs_156_tpt_13_dp_op_CI_CI_sbcc_twdbase8_2step_dirReg_intrinsicRead
                                        ; -- End function
	.section	.AMDGPU.csdata,"",@progbits
; Kernel info:
; codeLenInByte = 12032
; NumSgprs: 64
; NumVgprs: 256
; NumAgprs: 2
; TotalNumVgprs: 258
; ScratchSize: 0
; MemoryBound: 0
; FloatMode: 240
; IeeeMode: 1
; LDSByteSize: 0 bytes/workgroup (compile time only)
; SGPRBlocks: 7
; VGPRBlocks: 32
; NumSGPRsForWavesPerEU: 64
; NumVGPRsForWavesPerEU: 258
; AccumOffset: 256
; Occupancy: 1
; WaveLimiterHint : 1
; COMPUTE_PGM_RSRC2:SCRATCH_EN: 0
; COMPUTE_PGM_RSRC2:USER_SGPR: 2
; COMPUTE_PGM_RSRC2:TRAP_HANDLER: 0
; COMPUTE_PGM_RSRC2:TGID_X_EN: 1
; COMPUTE_PGM_RSRC2:TGID_Y_EN: 0
; COMPUTE_PGM_RSRC2:TGID_Z_EN: 0
; COMPUTE_PGM_RSRC2:TIDIG_COMP_CNT: 0
; COMPUTE_PGM_RSRC3_GFX90A:ACCUM_OFFSET: 63
; COMPUTE_PGM_RSRC3_GFX90A:TG_SPLIT: 0
	.text
	.p2alignl 6, 3212836864
	.fill 256, 4, 3212836864
	.type	__hip_cuid_8b0be152eaca673,@object ; @__hip_cuid_8b0be152eaca673
	.section	.bss,"aw",@nobits
	.globl	__hip_cuid_8b0be152eaca673
__hip_cuid_8b0be152eaca673:
	.byte	0                               ; 0x0
	.size	__hip_cuid_8b0be152eaca673, 1

	.ident	"AMD clang version 19.0.0git (https://github.com/RadeonOpenCompute/llvm-project roc-6.4.0 25133 c7fe45cf4b819c5991fe208aaa96edf142730f1d)"
	.section	".note.GNU-stack","",@progbits
	.addrsig
	.addrsig_sym __hip_cuid_8b0be152eaca673
	.amdgpu_metadata
---
amdhsa.kernels:
  - .agpr_count:     2
    .args:
      - .actual_access:  read_only
        .address_space:  global
        .offset:         0
        .size:           8
        .value_kind:     global_buffer
      - .address_space:  global
        .offset:         8
        .size:           8
        .value_kind:     global_buffer
      - .offset:         16
        .size:           8
        .value_kind:     by_value
      - .actual_access:  read_only
        .address_space:  global
        .offset:         24
        .size:           8
        .value_kind:     global_buffer
      - .actual_access:  read_only
        .address_space:  global
        .offset:         32
        .size:           8
        .value_kind:     global_buffer
      - .actual_access:  read_only
        .address_space:  global
        .offset:         40
        .size:           8
        .value_kind:     global_buffer
      - .offset:         48
        .size:           8
        .value_kind:     by_value
      - .actual_access:  read_only
        .address_space:  global
        .offset:         56
        .size:           8
        .value_kind:     global_buffer
      - .actual_access:  read_only
        .address_space:  global
        .offset:         64
        .size:           8
        .value_kind:     global_buffer
      - .offset:         72
        .size:           4
        .value_kind:     by_value
      - .actual_access:  read_only
        .address_space:  global
        .offset:         80
        .size:           8
        .value_kind:     global_buffer
      - .actual_access:  read_only
        .address_space:  global
        .offset:         88
        .size:           8
        .value_kind:     global_buffer
      - .actual_access:  read_only
        .address_space:  global
        .offset:         96
        .size:           8
        .value_kind:     global_buffer
      - .actual_access:  write_only
        .address_space:  global
        .offset:         104
        .size:           8
        .value_kind:     global_buffer
    .group_segment_fixed_size: 0
    .kernarg_segment_align: 8
    .kernarg_segment_size: 112
    .language:       OpenCL C
    .language_version:
      - 2
      - 0
    .max_flat_workgroup_size: 156
    .name:           fft_rtc_fwd_len169_factors_13_13_wgs_156_tpt_13_dp_op_CI_CI_sbcc_twdbase8_2step_dirReg_intrinsicRead
    .private_segment_fixed_size: 0
    .sgpr_count:     64
    .sgpr_spill_count: 0
    .symbol:         fft_rtc_fwd_len169_factors_13_13_wgs_156_tpt_13_dp_op_CI_CI_sbcc_twdbase8_2step_dirReg_intrinsicRead.kd
    .uniform_work_group_size: 1
    .uses_dynamic_stack: false
    .vgpr_count:     258
    .vgpr_spill_count: 0
    .wavefront_size: 64
amdhsa.target:   amdgcn-amd-amdhsa--gfx950
amdhsa.version:
  - 1
  - 2
...

	.end_amdgpu_metadata
